;; amdgpu-corpus repo=ROCm/rocFFT kind=compiled arch=gfx1201 opt=O3
	.text
	.amdgcn_target "amdgcn-amd-amdhsa--gfx1201"
	.amdhsa_code_object_version 6
	.protected	bluestein_single_fwd_len2880_dim1_dp_op_CI_CI ; -- Begin function bluestein_single_fwd_len2880_dim1_dp_op_CI_CI
	.globl	bluestein_single_fwd_len2880_dim1_dp_op_CI_CI
	.p2align	8
	.type	bluestein_single_fwd_len2880_dim1_dp_op_CI_CI,@function
bluestein_single_fwd_len2880_dim1_dp_op_CI_CI: ; @bluestein_single_fwd_len2880_dim1_dp_op_CI_CI
; %bb.0:
	s_load_b128 s[16:19], s[0:1], 0x28
	v_mul_u32_u24_e32 v1, 0x2ab, v0
	s_mov_b32 s2, exec_lo
	v_mov_b32_e32 v3, 0
	s_delay_alu instid0(VALU_DEP_2) | instskip(NEXT) | instid1(VALU_DEP_1)
	v_lshrrev_b32_e32 v1, 16, v1
	v_add_nc_u32_e32 v2, ttmp9, v1
	s_wait_kmcnt 0x0
	s_delay_alu instid0(VALU_DEP_1)
	v_cmpx_gt_u64_e64 s[16:17], v[2:3]
	s_cbranch_execz .LBB0_2
; %bb.1:
	s_clause 0x1
	s_load_b128 s[4:7], s[0:1], 0x18
	s_load_b128 s[8:11], s[0:1], 0x0
	v_mul_lo_u16 v1, 0x60, v1
	v_mov_b32_e32 v8, v2
	s_mov_b32 s20, 0x134454ff
	s_mov_b32 s21, 0x3fee6f0e
	;; [unrolled: 1-line block ×3, first 2 shown]
	v_sub_nc_u16 v220, v0, v1
	s_mov_b32 s22, s20
	s_mov_b32 s17, 0xbfe2cf23
	;; [unrolled: 1-line block ×4, first 2 shown]
	v_and_b32_e32 v198, 0xffff, v220
	s_mov_b32 s29, 0xbfe9e377
	s_mov_b32 s28, s24
	;; [unrolled: 1-line block ×3, first 2 shown]
	s_load_b64 s[0:1], s[0:1], 0x38
	v_or_b32_e32 v7, 0x900, v198
	s_wait_kmcnt 0x0
	s_load_b128 s[12:15], s[4:5], 0x0
	s_wait_kmcnt 0x0
	v_mad_co_u64_u32 v[0:1], null, s14, v2, 0
	v_mad_co_u64_u32 v[5:6], null, s12, v7, 0
	v_mov_b32_e32 v2, v7
	scratch_store_b64 off, v[8:9], off offset:16 ; 8-byte Folded Spill
	s_mul_i32 s14, s13, 0xffff6400
	s_mul_u64 s[2:3], s[12:13], 0x1200
	s_wait_alu 0xfffe
	s_sub_co_i32 s14, s14, s12
	v_mad_co_u64_u32 v[7:8], null, s15, v8, v[1:2]
	v_mov_b32_e32 v1, v6
	v_mad_co_u64_u32 v[3:4], null, s12, v198, 0
	v_lshlrev_b32_e32 v231, 4, v198
	scratch_store_b32 off, v2, off offset:8 ; 4-byte Folded Spill
	v_or_b32_e32 v199, 0x180, v198
	v_or_b32_e32 v15, 0x600, v198
	;; [unrolled: 1-line block ×3, first 2 shown]
	global_load_b128 v[75:78], v231, s[8:9]
	v_mad_co_u64_u32 v[8:9], null, s13, v198, v[4:5]
	v_mad_co_u64_u32 v[9:10], null, s13, v2, v[1:2]
	v_mov_b32_e32 v1, v7
	v_mad_co_u64_u32 v[11:12], null, s12, v199, 0
	v_mad_co_u64_u32 v[19:20], null, s12, v21, 0
	v_mov_b32_e32 v4, v8
	s_delay_alu instid0(VALU_DEP_4)
	v_lshlrev_b64_e32 v[0:1], 4, v[0:1]
	v_mov_b32_e32 v6, v9
	v_or_b32_e32 v23, 0x300, v198
	v_or_b32_e32 v29, 0x780, v198
	v_lshlrev_b64_e32 v[3:4], 4, v[3:4]
	v_or_b32_e32 v31, 0x480, v198
	v_add_co_u32 v2, vcc_lo, s18, v0
	v_add_co_ci_u32_e32 v33, vcc_lo, s19, v1, vcc_lo
	v_lshlrev_b64_e32 v[0:1], 4, v[5:6]
	s_delay_alu instid0(VALU_DEP_3) | instskip(SKIP_1) | instid1(VALU_DEP_3)
	v_add_co_u32 v35, vcc_lo, v2, v3
	s_wait_alu 0xfffd
	v_add_co_ci_u32_e32 v36, vcc_lo, v33, v4, vcc_lo
	global_load_b128 v[55:58], v231, s[8:9] offset:36864
	global_load_b128 v[3:6], v[35:36], off
	v_add_co_u32 v0, vcc_lo, v2, v0
	s_wait_alu 0xfffd
	v_add_co_ci_u32_e32 v1, vcc_lo, v33, v1, vcc_lo
	scratch_store_b32 off, v15, off offset:12 ; 4-byte Folded Spill
	v_mad_co_u64_u32 v[27:28], null, s12, v29, 0
	global_load_b128 v[7:10], v[0:1], off
	v_mov_b32_e32 v0, v12
	s_mul_u64 s[4:5], s[12:13], 0x2400
	s_mov_b32 s18, 0x372fe950
	s_mov_b32 s19, 0x3fd3c6ef
	s_wait_alu 0xfffe
	s_mov_b32 s26, s18
	v_mad_co_u64_u32 v[0:1], null, s13, v199, v[0:1]
	s_delay_alu instid0(VALU_DEP_1) | instskip(NEXT) | instid1(VALU_DEP_1)
	v_mov_b32_e32 v12, v0
	v_lshlrev_b64_e32 v[0:1], 4, v[11:12]
	s_delay_alu instid0(VALU_DEP_1) | instskip(SKIP_1) | instid1(VALU_DEP_2)
	v_add_co_u32 v0, vcc_lo, v2, v0
	s_wait_alu 0xfffd
	v_add_co_ci_u32_e32 v1, vcc_lo, v33, v1, vcc_lo
	global_load_b128 v[51:54], v231, s[8:9] offset:6144
	global_load_b128 v[11:14], v[0:1], off
	v_mad_co_u64_u32 v[0:1], null, s12, v15, 0
	global_load_b128 v[71:74], v231, s[8:9] offset:24576
	s_clause 0x1
	scratch_store_b32 off, v21, off offset:24
	scratch_store_b32 off, v23, off
	v_mad_co_u64_u32 v[15:16], null, s13, v15, v[1:2]
	s_delay_alu instid0(VALU_DEP_1) | instskip(NEXT) | instid1(VALU_DEP_1)
	v_mov_b32_e32 v1, v15
	v_lshlrev_b64_e32 v[0:1], 4, v[0:1]
	s_delay_alu instid0(VALU_DEP_1) | instskip(SKIP_1) | instid1(VALU_DEP_2)
	v_add_co_u32 v0, vcc_lo, v2, v0
	s_wait_alu 0xfffd
	v_add_co_ci_u32_e32 v1, vcc_lo, v33, v1, vcc_lo
	global_load_b128 v[15:18], v[0:1], off
	v_mov_b32_e32 v0, v20
	s_delay_alu instid0(VALU_DEP_1) | instskip(NEXT) | instid1(VALU_DEP_1)
	v_mad_co_u64_u32 v[0:1], null, s13, v21, v[0:1]
	v_mov_b32_e32 v20, v0
	s_delay_alu instid0(VALU_DEP_1) | instskip(NEXT) | instid1(VALU_DEP_1)
	v_lshlrev_b64_e32 v[0:1], 4, v[19:20]
	v_add_co_u32 v0, vcc_lo, v2, v0
	s_wait_alu 0xfffd
	s_delay_alu instid0(VALU_DEP_2)
	v_add_co_ci_u32_e32 v1, vcc_lo, v33, v1, vcc_lo
	global_load_b128 v[67:70], v231, s[8:9] offset:43008
	global_load_b128 v[19:22], v[0:1], off
	v_mad_co_u64_u32 v[0:1], null, s12, v23, 0
	global_load_b128 v[59:62], v231, s[8:9] offset:12288
	s_clause 0x1
	scratch_store_b32 off, v29, off offset:28
	scratch_store_b32 off, v31, off offset:4
	v_mad_co_u64_u32 v[23:24], null, s13, v23, v[1:2]
	s_delay_alu instid0(VALU_DEP_1) | instskip(NEXT) | instid1(VALU_DEP_1)
	v_mov_b32_e32 v1, v23
	v_lshlrev_b64_e32 v[0:1], 4, v[0:1]
	s_delay_alu instid0(VALU_DEP_1) | instskip(SKIP_1) | instid1(VALU_DEP_2)
	v_add_co_u32 v0, vcc_lo, v2, v0
	s_wait_alu 0xfffd
	v_add_co_ci_u32_e32 v1, vcc_lo, v33, v1, vcc_lo
	global_load_b128 v[23:26], v[0:1], off
	v_mov_b32_e32 v0, v28
	s_delay_alu instid0(VALU_DEP_1) | instskip(NEXT) | instid1(VALU_DEP_1)
	v_mad_co_u64_u32 v[0:1], null, s13, v29, v[0:1]
	v_mov_b32_e32 v28, v0
	s_delay_alu instid0(VALU_DEP_1) | instskip(NEXT) | instid1(VALU_DEP_1)
	v_lshlrev_b64_e32 v[0:1], 4, v[27:28]
	v_add_co_u32 v0, vcc_lo, v2, v0
	s_wait_alu 0xfffd
	s_delay_alu instid0(VALU_DEP_2) | instskip(SKIP_3) | instid1(VALU_DEP_1)
	v_add_co_ci_u32_e32 v1, vcc_lo, v33, v1, vcc_lo
	global_load_b128 v[63:66], v231, s[8:9] offset:30720
	global_load_b128 v[27:30], v[0:1], off
	v_mad_co_u64_u32 v[0:1], null, s12, v31, 0
	v_mad_co_u64_u32 v[31:32], null, s13, v31, v[1:2]
	s_mul_i32 s13, s13, 0xffff7600
	s_delay_alu instid0(VALU_DEP_1) | instskip(NEXT) | instid1(VALU_DEP_1)
	v_mov_b32_e32 v1, v31
	v_lshlrev_b64_e32 v[0:1], 4, v[0:1]
	s_delay_alu instid0(VALU_DEP_1) | instskip(SKIP_1) | instid1(VALU_DEP_2)
	v_add_co_u32 v0, vcc_lo, v2, v0
	s_wait_alu 0xfffd
	v_add_co_ci_u32_e32 v1, vcc_lo, v33, v1, vcc_lo
	global_load_b128 v[79:82], v231, s[8:9] offset:18432
	global_load_b128 v[31:34], v[0:1], off
	v_add_co_u32 v0, vcc_lo, v35, s2
	s_wait_alu 0xfffd
	v_add_co_ci_u32_e32 v1, vcc_lo, s3, v36, vcc_lo
	global_load_b128 v[87:90], v231, s[8:9] offset:4608
	global_load_b128 v[35:38], v[0:1], off
	v_add_co_u32 v0, vcc_lo, v0, s2
	s_wait_alu 0xfffd
	v_add_co_ci_u32_e32 v1, vcc_lo, s3, v1, vcc_lo
	s_clause 0x3
	global_load_b128 v[83:86], v231, s[8:9] offset:9216
	global_load_b128 v[91:94], v231, s[8:9] offset:13824
	;; [unrolled: 1-line block ×4, first 2 shown]
	global_load_b128 v[39:42], v[0:1], off
	v_add_co_u32 v0, vcc_lo, v0, s2
	s_wait_alu 0xfffd
	v_add_co_ci_u32_e32 v1, vcc_lo, s3, v1, vcc_lo
	s_clause 0x5
	global_load_b128 v[99:102], v231, s[8:9] offset:3072
	global_load_b128 v[103:106], v231, s[8:9] offset:7680
	;; [unrolled: 1-line block ×6, first 2 shown]
	s_wait_loadcnt 0x1c
	scratch_store_b128 off, v[75:78], off offset:448 ; 16-byte Folded Spill
	s_wait_loadcnt 0x1b
	scratch_store_b128 off, v[55:58], off offset:112 ; 16-byte Folded Spill
	s_wait_loadcnt 0x1a
	v_mul_f64_e32 v[43:44], v[5:6], v[77:78]
	v_mul_f64_e32 v[45:46], v[3:4], v[77:78]
	s_wait_loadcnt 0x19
	v_mul_f64_e32 v[47:48], v[9:10], v[57:58]
	v_mul_f64_e32 v[49:50], v[7:8], v[57:58]
	s_wait_loadcnt 0x18
	scratch_store_b128 off, v[51:54], off offset:96 ; 16-byte Folded Spill
	v_fma_f64 v[3:4], v[3:4], v[75:76], v[43:44]
	v_fma_f64 v[5:6], v[5:6], v[75:76], -v[45:46]
	global_load_b128 v[43:46], v[0:1], off
	v_add_co_u32 v0, vcc_lo, v0, s4
	s_wait_alu 0xfffd
	v_add_co_ci_u32_e32 v1, vcc_lo, s5, v1, vcc_lo
	v_fma_f64 v[7:8], v[7:8], v[55:56], v[47:48]
	v_fma_f64 v[9:10], v[9:10], v[55:56], -v[49:50]
	s_wait_loadcnt 0x18
	v_mul_f64_e32 v[47:48], v[13:14], v[53:54]
	v_mul_f64_e32 v[49:50], v[11:12], v[53:54]
	global_load_b128 v[55:58], v231, s[8:9] offset:23040
	s_wait_loadcnt 0x18
	scratch_store_b128 off, v[71:74], off offset:80 ; 16-byte Folded Spill
	global_load_b128 v[75:78], v231, s[8:9] offset:10752
	v_fma_f64 v[11:12], v[11:12], v[51:52], v[47:48]
	v_fma_f64 v[13:14], v[13:14], v[51:52], -v[49:50]
	s_wait_loadcnt 0x18
	v_mul_f64_e32 v[47:48], v[17:18], v[73:74]
	v_mul_f64_e32 v[49:50], v[15:16], v[73:74]
	s_wait_loadcnt 0x17
	scratch_store_b128 off, v[67:70], off offset:64 ; 16-byte Folded Spill
	s_wait_loadcnt 0x15
	scratch_store_b128 off, v[59:62], off offset:48 ; 16-byte Folded Spill
	v_fma_f64 v[15:16], v[15:16], v[71:72], v[47:48]
	v_fma_f64 v[17:18], v[17:18], v[71:72], -v[49:50]
	v_mul_f64_e32 v[47:48], v[21:22], v[69:70]
	v_mul_f64_e32 v[49:50], v[19:20], v[69:70]
	global_load_b128 v[71:74], v231, s[8:9] offset:1536
	v_fma_f64 v[19:20], v[19:20], v[67:68], v[47:48]
	v_fma_f64 v[21:22], v[21:22], v[67:68], -v[49:50]
	s_wait_loadcnt 0x15
	v_mul_f64_e32 v[47:48], v[25:26], v[61:62]
	v_mul_f64_e32 v[49:50], v[23:24], v[61:62]
	s_wait_loadcnt 0x14
	scratch_store_b128 off, v[63:66], off offset:32 ; 16-byte Folded Spill
	global_load_b128 v[67:70], v231, s[8:9] offset:41472
	s_wait_loadcnt 0x13
	scratch_store_b128 off, v[79:82], off offset:432 ; 16-byte Folded Spill
	v_fma_f64 v[23:24], v[23:24], v[59:60], v[47:48]
	v_fma_f64 v[25:26], v[25:26], v[59:60], -v[49:50]
	v_mul_f64_e32 v[47:48], v[29:30], v[65:66]
	v_mul_f64_e32 v[49:50], v[27:28], v[65:66]
	global_load_b128 v[59:62], v231, s[8:9] offset:27648
	s_wait_loadcnt 0x12
	scratch_store_b128 off, v[87:90], off offset:496 ; 16-byte Folded Spill
	s_wait_loadcnt 0x10
	scratch_store_b128 off, v[83:86], off offset:480 ; 16-byte Folded Spill
	;; [unrolled: 2-line block ×11, first 2 shown]
	v_fma_f64 v[27:28], v[27:28], v[63:64], v[47:48]
	v_fma_f64 v[29:30], v[29:30], v[63:64], -v[49:50]
	v_mul_f64_e32 v[47:48], v[33:34], v[81:82]
	v_mul_f64_e32 v[49:50], v[31:32], v[81:82]
	global_load_b128 v[63:66], v231, s[8:9] offset:32256
	v_fma_f64 v[31:32], v[31:32], v[79:80], v[47:48]
	v_fma_f64 v[33:34], v[33:34], v[79:80], -v[49:50]
	v_mul_f64_e32 v[47:48], v[37:38], v[89:90]
	v_mul_f64_e32 v[49:50], v[35:36], v[89:90]
	global_load_b128 v[79:82], v231, s[8:9] offset:15360
	;; [unrolled: 5-line block ×3, first 2 shown]
	v_fma_f64 v[39:40], v[39:40], v[83:84], v[47:48]
	v_fma_f64 v[41:42], v[41:42], v[83:84], -v[49:50]
	s_wait_loadcnt 0x8
	v_mul_f64_e32 v[47:48], v[45:46], v[93:94]
	v_mul_f64_e32 v[49:50], v[43:44], v[93:94]
	s_wait_loadcnt 0x7
	scratch_store_b128 off, v[55:58], off offset:384 ; 16-byte Folded Spill
	global_load_b128 v[83:86], v231, s[8:9] offset:19968
	s_wait_loadcnt 0x7
	scratch_store_b128 off, v[75:78], off offset:304 ; 16-byte Folded Spill
	v_fma_f64 v[43:44], v[43:44], v[91:92], v[47:48]
	v_fma_f64 v[45:46], v[45:46], v[91:92], -v[49:50]
	global_load_b128 v[47:50], v[0:1], off
	v_add_co_u32 v0, vcc_lo, v0, s2
	s_wait_alu 0xfffd
	v_add_co_ci_u32_e32 v1, vcc_lo, s3, v1, vcc_lo
	global_load_b128 v[91:94], v231, s[8:9] offset:33792
	s_wait_loadcnt 0x8
	scratch_store_b128 off, v[71:74], off offset:368 ; 16-byte Folded Spill
	s_wait_loadcnt 0x7
	scratch_store_b128 off, v[67:70], off offset:352 ; 16-byte Folded Spill
	;; [unrolled: 2-line block ×7, first 2 shown]
	s_wait_loadcnt 0x1
	v_mul_f64_e32 v[51:52], v[49:50], v[57:58]
	v_mul_f64_e32 v[53:54], v[47:48], v[57:58]
	s_wait_loadcnt 0x0
	scratch_store_b128 off, v[91:94], off offset:272 ; 16-byte Folded Spill
	v_fma_f64 v[47:48], v[47:48], v[55:56], v[51:52]
	v_fma_f64 v[49:50], v[49:50], v[55:56], -v[53:54]
	global_load_b128 v[51:54], v[0:1], off
	v_add_co_u32 v0, vcc_lo, v0, s2
	s_wait_alu 0xfffd
	v_add_co_ci_u32_e32 v1, vcc_lo, s3, v1, vcc_lo
	s_wait_loadcnt 0x0
	v_mul_f64_e32 v[55:56], v[53:54], v[61:62]
	v_mul_f64_e32 v[57:58], v[51:52], v[61:62]
	s_delay_alu instid0(VALU_DEP_2) | instskip(NEXT) | instid1(VALU_DEP_2)
	v_fma_f64 v[51:52], v[51:52], v[59:60], v[55:56]
	v_fma_f64 v[53:54], v[53:54], v[59:60], -v[57:58]
	global_load_b128 v[55:58], v[0:1], off
	v_add_co_u32 v0, vcc_lo, v0, s4
	s_wait_alu 0xfffd
	v_add_co_ci_u32_e32 v1, vcc_lo, s5, v1, vcc_lo
	s_wait_loadcnt 0x0
	v_mul_f64_e32 v[59:60], v[57:58], v[65:66]
	v_mul_f64_e32 v[61:62], v[55:56], v[65:66]
	s_delay_alu instid0(VALU_DEP_2) | instskip(NEXT) | instid1(VALU_DEP_2)
	v_fma_f64 v[55:56], v[55:56], v[63:64], v[59:60]
	v_fma_f64 v[57:58], v[57:58], v[63:64], -v[61:62]
	global_load_b128 v[59:62], v[0:1], off
	v_mad_co_u64_u32 v[0:1], null, 0xffff6400, s12, v[0:1]
	s_delay_alu instid0(VALU_DEP_1)
	v_add_nc_u32_e32 v1, s14, v1
	s_mov_b32 s14, 0x4755a5e
	s_mov_b32 s15, 0x3fe2cf23
	s_wait_alu 0xfffe
	s_mov_b32 s16, s14
	s_wait_loadcnt 0x0
	v_mul_f64_e32 v[63:64], v[61:62], v[69:70]
	v_mul_f64_e32 v[65:66], v[59:60], v[69:70]
	s_delay_alu instid0(VALU_DEP_2) | instskip(NEXT) | instid1(VALU_DEP_2)
	v_fma_f64 v[59:60], v[59:60], v[67:68], v[63:64]
	v_fma_f64 v[61:62], v[61:62], v[67:68], -v[65:66]
	global_load_b128 v[63:66], v[0:1], off
	v_add_co_u32 v0, vcc_lo, v0, s4
	s_wait_alu 0xfffd
	v_add_co_ci_u32_e32 v1, vcc_lo, s5, v1, vcc_lo
	s_wait_loadcnt 0x0
	v_mul_f64_e32 v[67:68], v[65:66], v[73:74]
	v_mul_f64_e32 v[69:70], v[63:64], v[73:74]
	s_delay_alu instid0(VALU_DEP_2) | instskip(NEXT) | instid1(VALU_DEP_2)
	v_fma_f64 v[63:64], v[63:64], v[71:72], v[67:68]
	v_fma_f64 v[65:66], v[65:66], v[71:72], -v[69:70]
	global_load_b128 v[67:70], v[0:1], off
	v_add_co_u32 v0, vcc_lo, v0, s2
	s_wait_alu 0xfffd
	v_add_co_ci_u32_e32 v1, vcc_lo, s3, v1, vcc_lo
	;; [unrolled: 10-line block ×6, first 2 shown]
	s_wait_loadcnt 0x0
	v_mul_f64_e32 v[87:88], v[85:86], v[93:94]
	v_mul_f64_e32 v[89:90], v[83:84], v[93:94]
	s_delay_alu instid0(VALU_DEP_2) | instskip(NEXT) | instid1(VALU_DEP_2)
	v_fma_f64 v[83:84], v[83:84], v[91:92], v[87:88]
	v_fma_f64 v[85:86], v[85:86], v[91:92], -v[89:90]
	global_load_b128 v[87:90], v[0:1], off
	v_mad_co_u64_u32 v[0:1], null, 0xffff7600, s12, v[0:1]
	s_sub_co_i32 s12, s13, s12
	s_mov_b32 s13, 0xbfebb67a
	s_wait_alu 0xfffe
	s_delay_alu instid0(VALU_DEP_1) | instskip(SKIP_3) | instid1(VALU_DEP_2)
	v_add_nc_u32_e32 v1, s12, v1
	s_wait_loadcnt 0x0
	v_mul_f64_e32 v[91:92], v[89:90], v[97:98]
	v_mul_f64_e32 v[93:94], v[87:88], v[97:98]
	v_fma_f64 v[87:88], v[87:88], v[95:96], v[91:92]
	s_delay_alu instid0(VALU_DEP_2)
	v_fma_f64 v[89:90], v[89:90], v[95:96], -v[93:94]
	global_load_b128 v[91:94], v[0:1], off
	v_add_co_u32 v0, vcc_lo, v0, s2
	s_wait_alu 0xfffd
	v_add_co_ci_u32_e32 v1, vcc_lo, s3, v1, vcc_lo
	s_wait_loadcnt 0x0
	v_mul_f64_e32 v[95:96], v[93:94], v[101:102]
	v_mul_f64_e32 v[97:98], v[91:92], v[101:102]
	s_delay_alu instid0(VALU_DEP_2) | instskip(NEXT) | instid1(VALU_DEP_2)
	v_fma_f64 v[91:92], v[91:92], v[99:100], v[95:96]
	v_fma_f64 v[93:94], v[93:94], v[99:100], -v[97:98]
	global_load_b128 v[95:98], v[0:1], off
	v_add_co_u32 v0, vcc_lo, v0, s4
	s_wait_alu 0xfffd
	v_add_co_ci_u32_e32 v1, vcc_lo, s5, v1, vcc_lo
	s_wait_loadcnt 0x0
	v_mul_f64_e32 v[99:100], v[97:98], v[105:106]
	v_mul_f64_e32 v[101:102], v[95:96], v[105:106]
	s_delay_alu instid0(VALU_DEP_2) | instskip(NEXT) | instid1(VALU_DEP_2)
	v_fma_f64 v[95:96], v[95:96], v[103:104], v[99:100]
	;; [unrolled: 10-line block ×6, first 2 shown]
	v_fma_f64 v[114:115], v[114:115], v[120:121], -v[118:119]
	global_load_b128 v[116:119], v[0:1], off
	v_add_co_u32 v0, vcc_lo, v0, s2
	s_wait_alu 0xfffd
	v_add_co_ci_u32_e32 v1, vcc_lo, s3, v1, vcc_lo
	v_cmp_gt_u16_e64 vcc_lo, 60, v220
	s_wait_loadcnt 0x0
	v_mul_f64_e32 v[120:121], v[118:119], v[126:127]
	v_mul_f64_e32 v[122:123], v[116:117], v[126:127]
	s_delay_alu instid0(VALU_DEP_2) | instskip(NEXT) | instid1(VALU_DEP_2)
	v_fma_f64 v[116:117], v[116:117], v[124:125], v[120:121]
	v_fma_f64 v[118:119], v[118:119], v[124:125], -v[122:123]
	global_load_b128 v[120:123], v[0:1], off
	global_load_b128 v[126:129], v231, s[8:9] offset:44544
	s_wait_loadcnt 0x0
	v_mul_f64_e32 v[0:1], v[122:123], v[128:129]
	v_mul_f64_e32 v[124:125], v[120:121], v[128:129]
	scratch_store_b128 off, v[126:129], off offset:224 ; 16-byte Folded Spill
	v_fma_f64 v[120:121], v[120:121], v[126:127], v[0:1]
	v_fma_f64 v[122:123], v[122:123], v[126:127], -v[124:125]
	ds_store_b128 v231, v[3:6]
	ds_store_b128 v231, v[7:10] offset:36864
	ds_store_b128 v231, v[11:14] offset:6144
	;; [unrolled: 1-line block ×29, first 2 shown]
	s_load_b128 s[4:7], s[6:7], 0x0
	global_wb scope:SCOPE_SE
	s_wait_storecnt_dscnt 0x0
	s_wait_kmcnt 0x0
	s_barrier_signal -1
	s_barrier_wait -1
	global_inv scope:SCOPE_SE
	ds_load_b128 v[3:6], v231 offset:9216
	ds_load_b128 v[142:145], v231
	ds_load_b128 v[28:31], v231 offset:36864
	ds_load_b128 v[32:35], v231 offset:18432
	s_wait_dscnt 0x2
	v_add_f64_e32 v[12:13], v[144:145], v[5:6]
	v_add_f64_e32 v[0:1], v[142:143], v[3:4]
	s_wait_dscnt 0x1
	v_add_f64_e32 v[190:191], v[3:4], v[28:29]
	v_add_f64_e32 v[194:195], v[5:6], v[30:31]
	v_add_f64_e64 v[16:17], v[5:6], -v[30:31]
	s_wait_dscnt 0x0
	v_add_f64_e64 v[162:163], v[3:4], -v[32:33]
	v_add_f64_e64 v[7:8], v[32:33], -v[3:4]
	;; [unrolled: 1-line block ×5, first 2 shown]
	ds_load_b128 v[3:6], v231 offset:27648
	s_wait_dscnt 0x0
	v_add_f64_e32 v[202:203], v[32:33], v[3:4]
	v_add_f64_e64 v[22:23], v[32:33], -v[3:4]
	v_add_f64_e32 v[200:201], v[34:35], v[5:6]
	v_add_f64_e64 v[20:21], v[34:35], -v[5:6]
	v_add_f64_e64 v[172:173], v[28:29], -v[3:4]
	;; [unrolled: 1-line block ×4, first 2 shown]
	v_add_f64_e32 v[36:37], v[12:13], v[34:35]
	v_add_f64_e32 v[0:1], v[0:1], v[32:33]
	v_fma_f64 v[206:207], v[190:191], -0.5, v[142:143]
	scratch_store_b64 off, v[7:8], off offset:516 ; 8-byte Folded Spill
	v_fma_f64 v[190:191], v[200:201], -0.5, v[144:145]
	v_add_f64_e32 v[32:33], v[36:37], v[5:6]
	v_add_f64_e32 v[0:1], v[0:1], v[3:4]
	v_add_f64_e64 v[36:37], v[3:4], -v[28:29]
	s_delay_alu instid0(VALU_DEP_3)
	v_add_f64_e32 v[136:137], v[32:33], v[30:31]
	ds_load_b128 v[30:33], v231 offset:13824
	ds_load_b128 v[4:7], v231 offset:4608
	v_add_f64_e32 v[134:135], v[0:1], v[28:29]
	ds_load_b128 v[50:53], v231 offset:41472
	ds_load_b128 v[44:47], v231 offset:23040
	;; [unrolled: 1-line block ×7, first 2 shown]
	s_wait_dscnt 0x7
	v_add_f64_e32 v[34:35], v[6:7], v[32:33]
	v_add_f64_e32 v[0:1], v[4:5], v[30:31]
	s_wait_dscnt 0x6
	v_add_f64_e32 v[170:171], v[32:33], v[52:53]
	v_add_f64_e64 v[28:29], v[32:33], -v[52:53]
	s_wait_dscnt 0x5
	v_add_f64_e64 v[184:185], v[30:31], -v[44:45]
	v_add_f64_e64 v[40:41], v[44:45], -v[30:31]
	;; [unrolled: 1-line block ×4, first 2 shown]
	s_wait_dscnt 0x4
	v_add_f64_e32 v[176:177], v[44:45], v[54:55]
	v_add_f64_e64 v[32:33], v[44:45], -v[54:55]
	v_add_f64_e32 v[102:103], v[30:31], v[50:51]
	v_add_f64_e64 v[30:31], v[30:31], -v[50:51]
	v_add_f64_e32 v[178:179], v[46:47], v[56:57]
	v_add_f64_e64 v[225:226], v[50:51], -v[54:55]
	v_add_f64_e64 v[24:25], v[52:53], -v[56:57]
	s_wait_dscnt 0x0
	v_add_f64_e32 v[229:230], v[62:63], v[78:79]
	v_add_f64_e32 v[232:233], v[64:65], v[80:81]
	v_add_f64_e64 v[72:73], v[78:79], -v[74:75]
	v_add_f64_e32 v[48:49], v[34:35], v[46:47]
	v_add_f64_e32 v[0:1], v[0:1], v[44:45]
	v_add_f64_e64 v[34:35], v[46:47], -v[56:57]
	v_add_f64_e64 v[46:47], v[54:55], -v[50:51]
	v_fma_f64 v[200:201], v[170:171], -0.5, v[6:7]
	v_add_f64_e32 v[44:45], v[48:49], v[56:57]
	v_add_f64_e32 v[0:1], v[0:1], v[54:55]
	v_add_f64_e64 v[48:49], v[56:57], -v[52:53]
	v_add_f64_e64 v[54:55], v[62:63], -v[78:79]
	v_add_f64_e32 v[40:41], v[40:41], v[46:47]
	v_add_f64_e32 v[182:183], v[44:45], v[52:53]
	;; [unrolled: 1-line block ×5, first 2 shown]
	ds_load_b128 v[50:53], v231 offset:19968
	v_add_f64_e32 v[42:43], v[42:43], v[48:49]
	s_wait_dscnt 0x0
	v_add_f64_e64 v[2:3], v[50:51], -v[62:63]
	v_add_f64_e32 v[196:197], v[50:51], v[74:75]
	v_add_f64_e64 v[60:61], v[62:63], -v[50:51]
	v_add_f64_e32 v[227:228], v[52:53], v[76:77]
	v_add_f64_e64 v[68:69], v[64:65], -v[52:53]
	v_add_f64_e64 v[58:59], v[52:53], -v[64:65]
	;; [unrolled: 1-line block ×3, first 2 shown]
	v_add_f64_e32 v[218:219], v[136:137], v[182:183]
	v_add_f64_e32 v[66:67], v[44:45], v[52:53]
	v_add_f64_e64 v[44:45], v[52:53], -v[76:77]
	v_add_f64_e32 v[0:1], v[0:1], v[50:51]
	v_add_f64_e64 v[50:51], v[50:51], -v[74:75]
	v_add_f64_e64 v[52:53], v[64:65], -v[80:81]
	v_add_f64_e64 v[64:65], v[76:77], -v[80:81]
	v_add_f64_e32 v[216:217], v[134:135], v[180:181]
	v_add_f64_e64 v[221:222], v[134:135], -v[180:181]
	v_add_f64_e64 v[223:224], v[136:137], -v[182:183]
	v_fma_f64 v[182:183], v[229:230], -0.5, v[148:149]
	v_fma_f64 v[180:181], v[232:233], -0.5, v[150:151]
	scratch_store_b64 off, v[2:3], off offset:532 ; 8-byte Folded Spill
	ds_load_b128 v[88:91], v231 offset:15360
	ds_load_b128 v[152:155], v231 offset:6144
	;; [unrolled: 1-line block ×4, first 2 shown]
	v_fma_f64 v[196:197], v[196:197], -0.5, v[148:149]
	v_fma_f64 v[227:228], v[227:228], -0.5, v[150:151]
	v_add_f64_e32 v[66:67], v[66:67], v[76:77]
	v_add_f64_e32 v[0:1], v[0:1], v[74:75]
	v_add_f64_e64 v[74:75], v[80:81], -v[76:77]
	v_add_f64_e32 v[64:65], v[58:59], v[64:65]
	s_wait_dscnt 0x0
	v_add_f64_e32 v[242:243], v[88:89], v[104:105]
	v_add_f64_e32 v[244:245], v[90:91], v[106:107]
	v_add_f64_e64 v[100:101], v[104:105], -v[96:97]
	v_add_f64_e64 v[56:57], v[106:107], -v[98:99]
	;; [unrolled: 1-line block ×3, first 2 shown]
	v_add_f64_e32 v[236:237], v[66:67], v[80:81]
	v_add_f64_e32 v[66:67], v[154:155], v[90:91]
	;; [unrolled: 1-line block ×3, first 2 shown]
	ds_load_b128 v[76:79], v231 offset:24576
	v_add_f64_e32 v[0:1], v[152:153], v[88:89]
	ds_load_b128 v[208:211], v231 offset:3072
	ds_load_b128 v[110:113], v231 offset:12288
	;; [unrolled: 1-line block ×4, first 2 shown]
	s_wait_dscnt 0x4
	v_add_f64_e32 v[238:239], v[76:77], v[96:97]
	v_add_f64_e64 v[86:87], v[88:89], -v[76:77]
	v_add_f64_e64 v[80:81], v[76:77], -v[88:89]
	v_add_f64_e32 v[240:241], v[78:79], v[98:99]
	v_add_f64_e64 v[70:71], v[76:77], -v[96:97]
	v_add_f64_e64 v[94:95], v[90:91], -v[78:79]
	;; [unrolled: 1-line block ×3, first 2 shown]
	s_wait_dscnt 0x0
	v_add_f64_e32 v[254:255], v[110:111], v[126:127]
	v_add_f64_e64 v[120:121], v[126:127], -v[122:123]
	v_add_f64_e32 v[82:83], v[66:67], v[78:79]
	v_add_f64_e64 v[66:67], v[78:79], -v[98:99]
	v_add_f64_e64 v[78:79], v[90:91], -v[106:107]
	v_add_f64_e32 v[0:1], v[0:1], v[76:77]
	v_add_f64_e64 v[76:77], v[88:89], -v[104:105]
	v_add_f64_e64 v[90:91], v[96:97], -v[104:105]
	v_fma_f64 v[170:171], v[238:239], -0.5, v[152:153]
	v_add_f64_e32 v[94:95], v[94:95], v[56:57]
	v_add_f64_e32 v[82:83], v[82:83], v[98:99]
	;; [unrolled: 1-line block ×3, first 2 shown]
	ds_load_b128 v[96:99], v231 offset:21504
	ds_load_b128 v[212:215], v231 offset:7680
	;; [unrolled: 1-line block ×3, first 2 shown]
	v_add_f64_e32 v[0:1], v[112:113], v[128:129]
	ds_load_b128 v[158:161], v231 offset:35328
	ds_load_b128 v[164:167], v231 offset:44544
	s_wait_dscnt 0x4
	v_add_f64_e64 v[108:109], v[110:111], -v[96:97]
	v_add_f64_e32 v[252:253], v[98:99], v[124:125]
	v_add_f64_e64 v[116:117], v[112:113], -v[98:99]
	v_add_f64_e32 v[250:251], v[96:97], v[122:123]
	s_wait_dscnt 0x0
	v_add_f64_e32 v[12:13], v[138:139], v[164:165]
	v_add_f64_e32 v[14:15], v[140:141], v[166:167]
	;; [unrolled: 1-line block ×4, first 2 shown]
	v_add_f64_e64 v[106:107], v[98:99], -v[112:113]
	v_add_f64_e32 v[246:247], v[88:89], v[104:105]
	v_add_f64_e64 v[104:105], v[96:97], -v[110:111]
	v_add_f64_e64 v[88:89], v[96:97], -v[122:123]
	v_fma_f64 v[136:137], v[252:253], -0.5, v[210:211]
	v_fma_f64 v[134:135], v[250:251], -0.5, v[208:209]
	;; [unrolled: 1-line block ×4, first 2 shown]
	v_add_f64_e32 v[114:115], v[82:83], v[96:97]
	v_add_f64_e32 v[82:83], v[210:211], v[112:113]
	v_add_f64_e64 v[96:97], v[112:113], -v[128:129]
	v_add_f64_e64 v[112:113], v[122:123], -v[126:127]
	s_delay_alu instid0(VALU_DEP_3)
	v_add_f64_e32 v[118:119], v[82:83], v[98:99]
	v_add_f64_e64 v[82:83], v[98:99], -v[124:125]
	v_add_f64_e64 v[98:99], v[110:111], -v[126:127]
	v_add_f64_e32 v[110:111], v[114:115], v[122:123]
	v_add_f64_e64 v[122:123], v[128:129], -v[124:125]
	v_add_f64_e64 v[114:115], v[124:125], -v[128:129]
	v_add_f64_e32 v[118:119], v[118:119], v[124:125]
	s_delay_alu instid0(VALU_DEP_4)
	v_add_f64_e32 v[2:3], v[110:111], v[126:127]
	v_add_f64_e32 v[110:111], v[212:213], v[138:139]
	ds_load_b128 v[124:127], v231 offset:26112
	global_wb scope:SCOPE_SE
	s_wait_storecnt_dscnt 0x0
	s_barrier_signal -1
	s_barrier_wait -1
	global_inv scope:SCOPE_SE
	v_add_f64_e32 v[8:9], v[124:125], v[158:159]
	v_add_f64_e64 v[132:133], v[138:139], -v[124:125]
	v_add_f64_e32 v[10:11], v[126:127], v[160:161]
	v_add_f64_e64 v[146:147], v[140:141], -v[126:127]
	v_add_f64_e64 v[130:131], v[126:127], -v[140:141]
	v_add_f64_e32 v[192:193], v[118:119], v[128:129]
	v_add_f64_e64 v[128:129], v[124:125], -v[138:139]
	v_add_f64_e64 v[118:119], v[124:125], -v[158:159]
	v_add_f64_e32 v[156:157], v[110:111], v[124:125]
	v_add_f64_e32 v[110:111], v[214:215], v[140:141]
	v_add_f64_e64 v[124:125], v[138:139], -v[164:165]
	v_add_f64_e64 v[138:139], v[158:159], -v[164:165]
	s_delay_alu instid0(VALU_DEP_4) | instskip(NEXT) | instid1(VALU_DEP_4)
	v_add_f64_e32 v[204:205], v[156:157], v[158:159]
	v_add_f64_e32 v[188:189], v[110:111], v[126:127]
	v_add_f64_e64 v[110:111], v[126:127], -v[160:161]
	v_add_f64_e64 v[126:127], v[140:141], -v[166:167]
	;; [unrolled: 1-line block ×5, first 2 shown]
	v_add_f64_e32 v[188:189], v[188:189], v[160:161]
	v_add_f64_e32 v[160:161], v[204:205], v[164:165]
	v_fma_f64 v[204:205], v[194:195], -0.5, v[144:145]
	v_fma_f64 v[194:195], v[176:177], -0.5, v[4:5]
	;; [unrolled: 1-line block ×4, first 2 shown]
	v_add_f64_e32 v[8:9], v[234:235], v[246:247]
	v_add_f64_e32 v[164:165], v[188:189], v[166:167]
	v_fma_f64 v[188:189], v[202:203], -0.5, v[142:143]
	v_fma_f64 v[202:203], v[102:103], -0.5, v[4:5]
	;; [unrolled: 1-line block ×5, first 2 shown]
	v_mul_lo_u16 v0, v220, 10
	v_fma_f64 v[166:167], v[240:241], -0.5, v[154:155]
	v_fma_f64 v[154:155], v[254:255], -0.5, v[208:209]
	v_add_f64_e32 v[208:209], v[2:3], v[160:161]
	v_add_f64_e64 v[12:13], v[2:3], -v[160:161]
	v_and_b32_e32 v0, 0xffff, v0
	v_add_f64_e32 v[2:3], v[168:169], v[174:175]
	v_add_f64_e32 v[160:161], v[184:185], v[225:226]
	v_fma_f64 v[142:143], v[10:11], -0.5, v[214:215]
	v_add_f64_e32 v[10:11], v[236:237], v[248:249]
	v_add_f64_e64 v[4:5], v[234:235], -v[246:247]
	v_add_f64_e64 v[6:7], v[236:237], -v[248:249]
	v_add_f64_e32 v[210:211], v[192:193], v[164:165]
	v_add_f64_e64 v[14:15], v[192:193], -v[164:165]
	v_lshlrev_b32_e32 v192, 4, v0
	ds_store_b128 v192, v[216:219]
	ds_store_b128 v192, v[221:224] offset:80
	v_add_f64_e32 v[0:1], v[162:163], v[172:173]
	v_add_f64_e32 v[162:163], v[186:187], v[24:25]
	scratch_load_b64 v[24:25], off, off offset:516 th:TH_LOAD_LU ; 8-byte Folded Reload
	v_fma_f64 v[164:165], v[28:29], s[20:21], v[194:195]
	v_fma_f64 v[168:169], v[30:31], s[22:23], v[102:103]
	v_fma_f64 v[58:59], v[66:67], s[22:23], v[178:179]
	s_delay_alu instid0(VALU_DEP_3) | instskip(NEXT) | instid1(VALU_DEP_3)
	v_fma_f64 v[164:165], v[34:35], s[14:15], v[164:165]
	v_fma_f64 v[168:169], v[32:33], s[16:17], v[168:169]
	s_delay_alu instid0(VALU_DEP_3) | instskip(NEXT) | instid1(VALU_DEP_3)
	v_fma_f64 v[58:59], v[78:79], s[14:15], v[58:59]
	v_fma_f64 v[164:165], v[160:161], s[18:19], v[164:165]
	s_delay_alu instid0(VALU_DEP_3) | instskip(NEXT) | instid1(VALU_DEP_2)
	v_fma_f64 v[168:169], v[162:163], s[18:19], v[168:169]
	v_mul_f64_e32 v[172:173], s[24:25], v[164:165]
	v_mul_f64_e32 v[164:165], s[16:17], v[164:165]
	s_delay_alu instid0(VALU_DEP_2) | instskip(SKIP_1) | instid1(VALU_DEP_3)
	v_fma_f64 v[184:185], v[168:169], s[14:15], v[172:173]
	v_fma_f64 v[172:173], v[18:19], s[22:23], v[190:191]
	;; [unrolled: 1-line block ×4, first 2 shown]
	s_delay_alu instid0(VALU_DEP_3) | instskip(NEXT) | instid1(VALU_DEP_2)
	v_fma_f64 v[172:173], v[22:23], s[16:17], v[172:173]
	v_fma_f64 v[168:169], v[20:21], s[14:15], v[168:169]
	s_delay_alu instid0(VALU_DEP_2) | instskip(NEXT) | instid1(VALU_DEP_2)
	v_fma_f64 v[186:187], v[2:3], s[18:19], v[172:173]
	v_fma_f64 v[168:169], v[0:1], s[18:19], v[168:169]
	s_delay_alu instid0(VALU_DEP_2) | instskip(SKIP_1) | instid1(VALU_DEP_3)
	v_add_f64_e32 v[174:175], v[186:187], v[164:165]
	v_add_f64_e64 v[186:187], v[186:187], -v[164:165]
	v_add_f64_e32 v[172:173], v[168:169], v[184:185]
	v_add_f64_e64 v[184:185], v[168:169], -v[184:185]
	v_add_f64_e32 v[168:169], v[26:27], v[38:39]
	v_fma_f64 v[26:27], v[34:35], s[22:23], v[202:203]
	s_delay_alu instid0(VALU_DEP_1) | instskip(SKIP_3) | instid1(VALU_DEP_3)
	v_fma_f64 v[26:27], v[28:29], s[14:15], v[26:27]
	s_wait_loadcnt 0x0
	v_add_f64_e32 v[164:165], v[24:25], v[36:37]
	v_fma_f64 v[24:25], v[32:33], s[20:21], v[200:201]
	v_fma_f64 v[26:27], v[40:41], s[18:19], v[26:27]
	s_delay_alu instid0(VALU_DEP_2) | instskip(NEXT) | instid1(VALU_DEP_1)
	v_fma_f64 v[24:25], v[30:31], s[16:17], v[24:25]
	v_fma_f64 v[24:25], v[42:43], s[18:19], v[24:25]
	s_delay_alu instid0(VALU_DEP_1) | instskip(NEXT) | instid1(VALU_DEP_1)
	v_mul_f64_e32 v[36:37], s[20:21], v[24:25]
	v_fma_f64 v[36:37], v[26:27], s[18:19], v[36:37]
	v_mul_f64_e32 v[26:27], s[22:23], v[26:27]
	s_delay_alu instid0(VALU_DEP_1) | instskip(SKIP_2) | instid1(VALU_DEP_2)
	v_fma_f64 v[38:39], v[24:25], s[18:19], v[26:27]
	v_fma_f64 v[24:25], v[20:21], s[22:23], v[206:207]
	v_fma_f64 v[26:27], v[22:23], s[20:21], v[204:205]
	v_fma_f64 v[24:25], v[16:17], s[14:15], v[24:25]
	s_delay_alu instid0(VALU_DEP_2) | instskip(NEXT) | instid1(VALU_DEP_2)
	v_fma_f64 v[26:27], v[18:19], s[16:17], v[26:27]
	v_fma_f64 v[46:47], v[164:165], s[18:19], v[24:25]
	s_delay_alu instid0(VALU_DEP_2) | instskip(NEXT) | instid1(VALU_DEP_2)
	v_fma_f64 v[48:49], v[168:169], s[18:19], v[26:27]
	v_add_f64_e32 v[24:25], v[46:47], v[36:37]
	v_add_f64_e64 v[36:37], v[46:47], -v[36:37]
	v_fma_f64 v[46:47], v[20:21], s[20:21], v[206:207]
	s_delay_alu instid0(VALU_DEP_4) | instskip(SKIP_2) | instid1(VALU_DEP_4)
	v_add_f64_e32 v[26:27], v[48:49], v[38:39]
	v_add_f64_e64 v[38:39], v[48:49], -v[38:39]
	v_fma_f64 v[48:49], v[22:23], s[22:23], v[204:205]
	v_fma_f64 v[46:47], v[16:17], s[16:17], v[46:47]
	;; [unrolled: 1-line block ×3, first 2 shown]
	s_delay_alu instid0(VALU_DEP_3) | instskip(SKIP_1) | instid1(VALU_DEP_4)
	v_fma_f64 v[48:49], v[18:19], s[14:15], v[48:49]
	v_fma_f64 v[18:19], v[18:19], s[20:21], v[190:191]
	;; [unrolled: 1-line block ×7, first 2 shown]
	s_delay_alu instid0(VALU_DEP_4) | instskip(SKIP_2) | instid1(VALU_DEP_4)
	v_fma_f64 v[164:165], v[28:29], s[16:17], v[164:165]
	v_fma_f64 v[28:29], v[28:29], s[22:23], v[194:195]
	;; [unrolled: 1-line block ×4, first 2 shown]
	s_delay_alu instid0(VALU_DEP_4) | instskip(SKIP_2) | instid1(VALU_DEP_2)
	v_fma_f64 v[40:41], v[40:41], s[18:19], v[164:165]
	v_fma_f64 v[164:165], v[32:33], s[22:23], v[200:201]
	;; [unrolled: 1-line block ×5, first 2 shown]
	s_delay_alu instid0(VALU_DEP_3)
	v_fma_f64 v[22:23], v[160:161], s[18:19], v[28:29]
	v_fma_f64 v[28:29], v[78:79], s[20:21], v[170:171]
	v_add_f64_e32 v[102:103], v[130:131], v[140:141]
	v_fma_f64 v[42:43], v[42:43], s[18:19], v[164:165]
	v_fma_f64 v[20:21], v[32:33], s[14:15], v[30:31]
	v_mul_f64_e32 v[18:19], s[28:29], v[22:23]
	v_fma_f64 v[28:29], v[66:67], s[14:15], v[28:29]
	v_fma_f64 v[30:31], v[76:77], s[22:23], v[166:167]
	v_mul_f64_e32 v[164:165], s[26:27], v[40:41]
	v_fma_f64 v[16:17], v[162:163], s[18:19], v[20:21]
	s_delay_alu instid0(VALU_DEP_3) | instskip(NEXT) | instid1(VALU_DEP_3)
	v_fma_f64 v[30:31], v[70:71], s[16:17], v[30:31]
	v_fma_f64 v[164:165], v[42:43], s[20:21], v[164:165]
	v_mul_f64_e32 v[42:43], s[26:27], v[42:43]
	s_delay_alu instid0(VALU_DEP_4) | instskip(SKIP_2) | instid1(VALU_DEP_4)
	v_fma_f64 v[20:21], v[16:17], s[14:15], v[18:19]
	v_mul_f64_e32 v[16:17], s[28:29], v[16:17]
	v_fma_f64 v[30:31], v[94:95], s[18:19], v[30:31]
	v_fma_f64 v[168:169], v[40:41], s[22:23], v[42:43]
	v_add_f64_e32 v[40:41], v[46:47], v[164:165]
	v_add_f64_e64 v[46:47], v[46:47], -v[164:165]
	v_fma_f64 v[22:23], v[22:23], s[16:17], v[16:17]
	v_add_f64_e32 v[16:17], v[0:1], v[20:21]
	v_add_f64_e64 v[20:21], v[0:1], -v[20:21]
	v_add_f64_e32 v[0:1], v[60:61], v[72:73]
	v_add_f64_e32 v[42:43], v[48:49], v[168:169]
	v_add_f64_e64 v[48:49], v[48:49], -v[168:169]
	v_add_f64_e32 v[18:19], v[2:3], v[22:23]
	v_add_f64_e64 v[22:23], v[2:3], -v[22:23]
	v_add_f64_e32 v[2:3], v[68:69], v[74:75]
	v_add_f64_e32 v[68:69], v[86:87], v[100:101]
	v_add_f64_e32 v[74:75], v[80:81], v[90:91]
	v_add_f64_e32 v[80:81], v[84:85], v[92:93]
	v_fma_f64 v[92:93], v[110:111], s[22:23], v[150:151]
	v_add_f64_e32 v[100:101], v[128:129], v[138:139]
	v_fma_f64 v[28:29], v[68:69], s[18:19], v[28:29]
	v_fma_f64 v[58:59], v[74:75], s[18:19], v[58:59]
	s_delay_alu instid0(VALU_DEP_4) | instskip(NEXT) | instid1(VALU_DEP_3)
	v_fma_f64 v[92:93], v[126:127], s[14:15], v[92:93]
	v_mul_f64_e32 v[32:33], s[24:25], v[28:29]
	v_mul_f64_e32 v[28:29], s[16:17], v[28:29]
	s_delay_alu instid0(VALU_DEP_3) | instskip(NEXT) | instid1(VALU_DEP_3)
	v_fma_f64 v[92:93], v[100:101], s[18:19], v[92:93]
	v_fma_f64 v[32:33], v[30:31], s[14:15], v[32:33]
	s_delay_alu instid0(VALU_DEP_3) | instskip(SKIP_2) | instid1(VALU_DEP_2)
	v_fma_f64 v[34:35], v[30:31], s[24:25], v[28:29]
	v_fma_f64 v[28:29], v[52:53], s[20:21], v[196:197]
	;; [unrolled: 1-line block ×4, first 2 shown]
	s_delay_alu instid0(VALU_DEP_2) | instskip(NEXT) | instid1(VALU_DEP_2)
	v_fma_f64 v[30:31], v[50:51], s[16:17], v[30:31]
	v_fma_f64 v[56:57], v[0:1], s[18:19], v[28:29]
	s_delay_alu instid0(VALU_DEP_2) | instskip(NEXT) | instid1(VALU_DEP_2)
	v_fma_f64 v[60:61], v[2:3], s[18:19], v[30:31]
	v_add_f64_e32 v[28:29], v[56:57], v[32:33]
	v_add_f64_e64 v[32:33], v[56:57], -v[32:33]
	scratch_load_b64 v[56:57], off, off offset:532 th:TH_LOAD_LU ; 8-byte Folded Reload
	v_add_f64_e32 v[30:31], v[60:61], v[34:35]
	v_add_f64_e64 v[34:35], v[60:61], -v[34:35]
	ds_store_b128 v192, v[172:175] offset:16
	ds_store_b128 v192, v[24:27] offset:32
	;; [unrolled: 1-line block ×8, first 2 shown]
	s_wait_loadcnt 0x0
	v_add_f64_e32 v[72:73], v[56:57], v[62:63]
	v_fma_f64 v[56:57], v[70:71], s[20:21], v[176:177]
	s_delay_alu instid0(VALU_DEP_1) | instskip(NEXT) | instid1(VALU_DEP_1)
	v_fma_f64 v[56:57], v[76:77], s[16:17], v[56:57]
	v_fma_f64 v[56:57], v[80:81], s[18:19], v[56:57]
	s_delay_alu instid0(VALU_DEP_1) | instskip(NEXT) | instid1(VALU_DEP_1)
	v_mul_f64_e32 v[60:61], s[20:21], v[56:57]
	v_fma_f64 v[60:61], v[58:59], s[18:19], v[60:61]
	v_mul_f64_e32 v[58:59], s[22:23], v[58:59]
	s_delay_alu instid0(VALU_DEP_1) | instskip(SKIP_2) | instid1(VALU_DEP_2)
	v_fma_f64 v[62:63], v[56:57], s[18:19], v[58:59]
	v_fma_f64 v[56:57], v[44:45], s[22:23], v[182:183]
	;; [unrolled: 1-line block ×4, first 2 shown]
	s_delay_alu instid0(VALU_DEP_2) | instskip(NEXT) | instid1(VALU_DEP_2)
	v_fma_f64 v[58:59], v[54:55], s[16:17], v[58:59]
	v_fma_f64 v[84:85], v[72:73], s[18:19], v[56:57]
	s_delay_alu instid0(VALU_DEP_2) | instskip(NEXT) | instid1(VALU_DEP_2)
	v_fma_f64 v[86:87], v[64:65], s[18:19], v[58:59]
	v_add_f64_e32 v[56:57], v[84:85], v[60:61]
	v_add_f64_e64 v[60:61], v[84:85], -v[60:61]
	v_fma_f64 v[84:85], v[44:45], s[20:21], v[182:183]
	s_delay_alu instid0(VALU_DEP_4) | instskip(SKIP_1) | instid1(VALU_DEP_3)
	v_add_f64_e32 v[58:59], v[86:87], v[62:63]
	v_add_f64_e64 v[62:63], v[86:87], -v[62:63]
	v_fma_f64 v[84:85], v[52:53], s[16:17], v[84:85]
	v_fma_f64 v[52:53], v[52:53], s[22:23], v[196:197]
	s_delay_alu instid0(VALU_DEP_2) | instskip(SKIP_1) | instid1(VALU_DEP_3)
	v_fma_f64 v[84:85], v[72:73], s[18:19], v[84:85]
	v_fma_f64 v[72:73], v[50:51], s[22:23], v[180:181]
	;; [unrolled: 1-line block ×3, first 2 shown]
	s_delay_alu instid0(VALU_DEP_2) | instskip(SKIP_1) | instid1(VALU_DEP_3)
	v_fma_f64 v[72:73], v[54:55], s[14:15], v[72:73]
	v_fma_f64 v[54:55], v[54:55], s[20:21], v[227:228]
	;; [unrolled: 1-line block ×3, first 2 shown]
	s_delay_alu instid0(VALU_DEP_3) | instskip(SKIP_1) | instid1(VALU_DEP_4)
	v_fma_f64 v[64:65], v[64:65], s[18:19], v[72:73]
	v_fma_f64 v[72:73], v[66:67], s[20:21], v[178:179]
	;; [unrolled: 1-line block ×3, first 2 shown]
	s_delay_alu instid0(VALU_DEP_2) | instskip(NEXT) | instid1(VALU_DEP_2)
	v_fma_f64 v[72:73], v[78:79], s[16:17], v[72:73]
	v_fma_f64 v[2:3], v[2:3], s[18:19], v[50:51]
	s_delay_alu instid0(VALU_DEP_2) | instskip(SKIP_1) | instid1(VALU_DEP_1)
	v_fma_f64 v[72:73], v[74:75], s[18:19], v[72:73]
	v_fma_f64 v[74:75], v[70:71], s[22:23], v[176:177]
	;; [unrolled: 1-line block ×4, first 2 shown]
	s_delay_alu instid0(VALU_DEP_2) | instskip(SKIP_1) | instid1(VALU_DEP_3)
	v_fma_f64 v[74:75], v[80:81], s[18:19], v[74:75]
	v_mul_f64_e32 v[80:81], s[26:27], v[72:73]
	v_fma_f64 v[52:53], v[70:71], s[14:15], v[76:77]
	v_fma_f64 v[70:71], v[124:125], s[22:23], v[142:143]
	s_delay_alu instid0(VALU_DEP_3) | instskip(SKIP_1) | instid1(VALU_DEP_4)
	v_fma_f64 v[80:81], v[74:75], s[20:21], v[80:81]
	v_mul_f64_e32 v[74:75], s[26:27], v[74:75]
	v_fma_f64 v[44:45], v[94:95], s[18:19], v[52:53]
	s_delay_alu instid0(VALU_DEP_4) | instskip(SKIP_1) | instid1(VALU_DEP_4)
	v_fma_f64 v[70:71], v[118:119], s[16:17], v[70:71]
	v_add_f64_e32 v[94:95], v[106:107], v[114:115]
	v_fma_f64 v[86:87], v[72:73], s[22:23], v[74:75]
	v_add_f64_e32 v[72:73], v[84:85], v[80:81]
	v_add_f64_e64 v[84:85], v[84:85], -v[80:81]
	s_delay_alu instid0(VALU_DEP_3) | instskip(SKIP_2) | instid1(VALU_DEP_1)
	v_add_f64_e32 v[74:75], v[64:65], v[86:87]
	v_add_f64_e64 v[86:87], v[64:65], -v[86:87]
	v_fma_f64 v[64:65], v[78:79], s[22:23], v[170:171]
	v_fma_f64 v[64:65], v[66:67], s[16:17], v[64:65]
	s_delay_alu instid0(VALU_DEP_1) | instskip(SKIP_1) | instid1(VALU_DEP_2)
	v_fma_f64 v[54:55], v[68:69], s[18:19], v[64:65]
	v_fma_f64 v[68:69], v[126:127], s[20:21], v[144:145]
	v_mul_f64_e32 v[50:51], s[28:29], v[54:55]
	s_delay_alu instid0(VALU_DEP_2) | instskip(NEXT) | instid1(VALU_DEP_2)
	v_fma_f64 v[68:69], v[110:111], s[14:15], v[68:69]
	v_fma_f64 v[64:65], v[44:45], s[14:15], v[50:51]
	v_mul_f64_e32 v[44:45], s[28:29], v[44:45]
	s_delay_alu instid0(VALU_DEP_2) | instskip(NEXT) | instid1(VALU_DEP_2)
	v_add_f64_e32 v[50:51], v[0:1], v[64:65]
	v_fma_f64 v[44:45], v[54:55], s[16:17], v[44:45]
	v_add_f64_e32 v[54:55], v[146:147], v[158:159]
	v_add_f64_e64 v[64:65], v[0:1], -v[64:65]
	v_add_f64_e32 v[0:1], v[108:109], v[120:121]
	s_delay_alu instid0(VALU_DEP_4) | instskip(SKIP_4) | instid1(VALU_DEP_3)
	v_add_f64_e32 v[52:53], v[2:3], v[44:45]
	v_add_f64_e64 v[66:67], v[2:3], -v[44:45]
	v_add_f64_e32 v[44:45], v[132:133], v[156:157]
	v_fma_f64 v[70:71], v[54:55], s[18:19], v[70:71]
	v_add_f64_e32 v[2:3], v[116:117], v[122:123]
	v_fma_f64 v[68:69], v[44:45], s[18:19], v[68:69]
	s_delay_alu instid0(VALU_DEP_1) | instskip(SKIP_1) | instid1(VALU_DEP_2)
	v_mul_f64_e32 v[76:77], s[24:25], v[68:69]
	v_mul_f64_e32 v[68:69], s[16:17], v[68:69]
	v_fma_f64 v[76:77], v[70:71], s[14:15], v[76:77]
	s_delay_alu instid0(VALU_DEP_2) | instskip(SKIP_2) | instid1(VALU_DEP_2)
	v_fma_f64 v[78:79], v[70:71], s[24:25], v[68:69]
	v_fma_f64 v[70:71], v[98:99], s[22:23], v[136:137]
	;; [unrolled: 1-line block ×4, first 2 shown]
	s_delay_alu instid0(VALU_DEP_2) | instskip(NEXT) | instid1(VALU_DEP_2)
	v_fma_f64 v[68:69], v[82:83], s[14:15], v[68:69]
	v_fma_f64 v[90:91], v[2:3], s[18:19], v[70:71]
	s_delay_alu instid0(VALU_DEP_2) | instskip(NEXT) | instid1(VALU_DEP_2)
	v_fma_f64 v[80:81], v[0:1], s[18:19], v[68:69]
	v_add_f64_e32 v[70:71], v[90:91], v[78:79]
	v_add_f64_e64 v[78:79], v[90:91], -v[78:79]
	v_fma_f64 v[90:91], v[118:119], s[20:21], v[148:149]
	s_delay_alu instid0(VALU_DEP_4) | instskip(SKIP_2) | instid1(VALU_DEP_4)
	v_add_f64_e32 v[68:69], v[80:81], v[76:77]
	v_add_f64_e64 v[76:77], v[80:81], -v[76:77]
	v_add_f64_e32 v[80:81], v[104:105], v[112:113]
	v_fma_f64 v[90:91], v[124:125], s[16:17], v[90:91]
	s_delay_alu instid0(VALU_DEP_1) | instskip(NEXT) | instid1(VALU_DEP_1)
	v_fma_f64 v[90:91], v[102:103], s[18:19], v[90:91]
	v_mul_f64_e32 v[104:105], s[20:21], v[90:91]
	s_delay_alu instid0(VALU_DEP_1) | instskip(SKIP_1) | instid1(VALU_DEP_1)
	v_fma_f64 v[104:105], v[92:93], s[18:19], v[104:105]
	v_mul_f64_e32 v[92:93], s[22:23], v[92:93]
	v_fma_f64 v[106:107], v[90:91], s[18:19], v[92:93]
	v_fma_f64 v[90:91], v[82:83], s[22:23], v[154:155]
	;; [unrolled: 1-line block ×3, first 2 shown]
	s_delay_alu instid0(VALU_DEP_2) | instskip(NEXT) | instid1(VALU_DEP_2)
	v_fma_f64 v[90:91], v[96:97], s[14:15], v[90:91]
	v_fma_f64 v[92:93], v[98:99], s[16:17], v[92:93]
	s_delay_alu instid0(VALU_DEP_2) | instskip(NEXT) | instid1(VALU_DEP_2)
	v_fma_f64 v[108:109], v[80:81], s[18:19], v[90:91]
	v_fma_f64 v[114:115], v[94:95], s[18:19], v[92:93]
	s_delay_alu instid0(VALU_DEP_2) | instskip(SKIP_2) | instid1(VALU_DEP_4)
	v_add_f64_e32 v[90:91], v[108:109], v[104:105]
	v_add_f64_e64 v[112:113], v[108:109], -v[104:105]
	v_fma_f64 v[104:105], v[82:83], s[20:21], v[154:155]
	v_add_f64_e32 v[92:93], v[114:115], v[106:107]
	v_add_f64_e64 v[114:115], v[114:115], -v[106:107]
	v_add_co_u32 v106, null, 0x60, v198
	s_delay_alu instid0(VALU_DEP_1) | instskip(SKIP_1) | instid1(VALU_DEP_1)
	v_and_b32_e32 v109, 0xff, v106
	v_fma_f64 v[104:105], v[96:97], s[16:17], v[104:105]
	v_fma_f64 v[80:81], v[80:81], s[18:19], v[104:105]
	v_fma_f64 v[104:105], v[88:89], s[22:23], v[152:153]
	s_delay_alu instid0(VALU_DEP_1) | instskip(NEXT) | instid1(VALU_DEP_1)
	v_fma_f64 v[104:105], v[98:99], s[14:15], v[104:105]
	v_fma_f64 v[94:95], v[94:95], s[18:19], v[104:105]
	v_fma_f64 v[104:105], v[110:111], s[20:21], v[150:151]
	s_delay_alu instid0(VALU_DEP_1) | instskip(NEXT) | instid1(VALU_DEP_1)
	;; [unrolled: 4-line block ×3, first 2 shown]
	v_fma_f64 v[104:105], v[124:125], s[14:15], v[104:105]
	v_fma_f64 v[102:103], v[102:103], s[18:19], v[104:105]
	s_delay_alu instid0(VALU_DEP_4) | instskip(NEXT) | instid1(VALU_DEP_1)
	v_mul_f64_e32 v[104:105], s[26:27], v[100:101]
	v_fma_f64 v[104:105], v[102:103], s[20:21], v[104:105]
	v_mul_f64_e32 v[102:103], s[26:27], v[102:103]
	s_delay_alu instid0(VALU_DEP_2) | instskip(NEXT) | instid1(VALU_DEP_2)
	v_add_f64_e32 v[120:121], v[80:81], v[104:105]
	v_fma_f64 v[100:101], v[100:101], s[22:23], v[102:103]
	v_add_f64_e64 v[128:129], v[80:81], -v[104:105]
	v_fma_f64 v[80:81], v[126:127], s[22:23], v[144:145]
	v_add_co_u32 v105, null, 0xc0, v198
	v_add_co_u32 v104, s30, 0x120, v198
	s_delay_alu instid0(VALU_DEP_2) | instskip(NEXT) | instid1(VALU_DEP_2)
	v_and_b32_e32 v107, 0xffff, v105
	v_and_b32_e32 v108, 0xffff, v104
	v_add_f64_e32 v[122:123], v[94:95], v[100:101]
	v_add_f64_e64 v[130:131], v[94:95], -v[100:101]
	v_fma_f64 v[94:95], v[96:97], s[22:23], v[134:135]
	v_fma_f64 v[96:97], v[98:99], s[20:21], v[136:137]
	;; [unrolled: 1-line block ×4, first 2 shown]
	s_delay_alu instid0(VALU_DEP_4) | instskip(NEXT) | instid1(VALU_DEP_4)
	v_fma_f64 v[82:83], v[82:83], s[16:17], v[94:95]
	v_fma_f64 v[88:89], v[88:89], s[14:15], v[96:97]
	s_delay_alu instid0(VALU_DEP_4) | instskip(NEXT) | instid1(VALU_DEP_4)
	v_fma_f64 v[94:95], v[118:119], s[14:15], v[98:99]
	v_fma_f64 v[44:45], v[44:45], s[18:19], v[80:81]
	s_delay_alu instid0(VALU_DEP_4) | instskip(NEXT) | instid1(VALU_DEP_4)
	v_fma_f64 v[0:1], v[0:1], s[18:19], v[82:83]
	v_fma_f64 v[2:3], v[2:3], s[18:19], v[88:89]
	s_delay_alu instid0(VALU_DEP_4) | instskip(NEXT) | instid1(VALU_DEP_4)
	v_fma_f64 v[54:55], v[54:55], s[18:19], v[94:95]
	v_mul_f64_e32 v[80:81], s[28:29], v[44:45]
	s_delay_alu instid0(VALU_DEP_1) | instskip(SKIP_1) | instid1(VALU_DEP_2)
	v_fma_f64 v[88:89], v[54:55], s[14:15], v[80:81]
	v_mul_f64_e32 v[54:55], s[28:29], v[54:55]
	v_add_f64_e32 v[80:81], v[0:1], v[88:89]
	s_delay_alu instid0(VALU_DEP_2) | instskip(SKIP_2) | instid1(VALU_DEP_1)
	v_fma_f64 v[44:45], v[44:45], s[16:17], v[54:55]
	v_add_f64_e64 v[94:95], v[0:1], -v[88:89]
	v_mul_u32_u24_e32 v0, 10, v106
	v_lshlrev_b32_e32 v164, 4, v0
	v_mul_u32_u24_e32 v0, 10, v105
	ds_store_b128 v164, v[8:11]
	ds_store_b128 v164, v[28:31] offset:16
	ds_store_b128 v164, v[56:59] offset:32
	;; [unrolled: 1-line block ×9, first 2 shown]
	v_lshlrev_b32_e32 v165, 4, v0
	v_and_b32_e32 v0, 0xff, v220
	s_delay_alu instid0(VALU_DEP_1)
	v_mul_lo_u16 v0, 0xcd, v0
	v_add_f64_e32 v[82:83], v[2:3], v[44:45]
	v_add_f64_e64 v[96:97], v[2:3], -v[44:45]
	ds_store_b128 v165, v[208:211]
	ds_store_b128 v165, v[68:71] offset:16
	ds_store_b128 v165, v[90:93] offset:32
	;; [unrolled: 1-line block ×9, first 2 shown]
	v_lshrrev_b16 v112, 11, v0
	global_wb scope:SCOPE_SE
	s_wait_dscnt 0x0
	s_barrier_signal -1
	s_barrier_wait -1
	global_inv scope:SCOPE_SE
	v_mul_lo_u16 v0, v112, 10
	ds_load_b128 v[4:7], v231 offset:7680
	ds_load_b128 v[22:25], v231 offset:30720
	v_and_b32_e32 v112, 0xffff, v112
	v_sub_nc_u16 v0, v220, v0
	s_delay_alu instid0(VALU_DEP_2) | instskip(NEXT) | instid1(VALU_DEP_2)
	v_mul_u32_u24_e32 v112, 60, v112
	v_and_b32_e32 v113, 0xff, v0
	s_delay_alu instid0(VALU_DEP_1)
	v_mad_co_u64_u32 v[2:3], null, 0x50, v113, s[10:11]
	s_clause 0x3
	global_load_b128 v[8:11], v[2:3], off
	global_load_b128 v[18:21], v[2:3], off offset:32
	global_load_b128 v[26:29], v[2:3], off offset:48
	;; [unrolled: 1-line block ×3, first 2 shown]
	s_wait_loadcnt_dscnt 0x301
	v_mul_f64_e32 v[0:1], v[6:7], v[10:11]
	scratch_store_b128 off, v[8:11], off offset:516 ; 16-byte Folded Spill
	s_wait_loadcnt 0x2
	scratch_store_b128 off, v[18:21], off offset:548 ; 16-byte Folded Spill
	s_wait_loadcnt 0x1
	scratch_store_b128 off, v[26:29], off offset:564 ; 16-byte Folded Spill
	v_fma_f64 v[0:1], v[4:5], v[8:9], -v[0:1]
	v_mul_f64_e32 v[4:5], v[4:5], v[10:11]
	global_load_b128 v[10:13], v[2:3], off offset:16
	v_fma_f64 v[100:101], v[6:7], v[8:9], v[4:5]
	ds_load_b128 v[6:9], v231 offset:15360
	s_wait_loadcnt_dscnt 0x0
	v_mul_f64_e32 v[4:5], v[8:9], v[12:13]
	scratch_store_b128 off, v[10:13], off offset:532 ; 16-byte Folded Spill
	v_fma_f64 v[4:5], v[6:7], v[10:11], -v[4:5]
	v_mul_f64_e32 v[6:7], v[6:7], v[12:13]
	s_delay_alu instid0(VALU_DEP_1) | instskip(SKIP_3) | instid1(VALU_DEP_1)
	v_fma_f64 v[8:9], v[8:9], v[10:11], v[6:7]
	ds_load_b128 v[10:13], v231 offset:23040
	s_wait_dscnt 0x0
	v_mul_f64_e32 v[6:7], v[12:13], v[20:21]
	v_fma_f64 v[16:17], v[10:11], v[18:19], -v[6:7]
	v_mul_f64_e32 v[6:7], v[10:11], v[20:21]
	s_delay_alu instid0(VALU_DEP_1) | instskip(SKIP_1) | instid1(VALU_DEP_1)
	v_fma_f64 v[12:13], v[12:13], v[18:19], v[6:7]
	v_mul_f64_e32 v[6:7], v[24:25], v[28:29]
	v_fma_f64 v[20:21], v[22:23], v[26:27], -v[6:7]
	v_mul_f64_e32 v[6:7], v[22:23], v[28:29]
	s_delay_alu instid0(VALU_DEP_1) | instskip(SKIP_4) | instid1(VALU_DEP_2)
	v_fma_f64 v[22:23], v[24:25], v[26:27], v[6:7]
	ds_load_b128 v[24:27], v231 offset:38400
	s_wait_dscnt 0x0
	v_mul_f64_e32 v[2:3], v[26:27], v[34:35]
	v_add_f64_e32 v[102:103], v[8:9], v[22:23]
	v_fma_f64 v[30:31], v[24:25], v[32:33], -v[2:3]
	v_mul_f64_e32 v[2:3], v[24:25], v[34:35]
	s_delay_alu instid0(VALU_DEP_1) | instskip(SKIP_3) | instid1(VALU_DEP_1)
	v_fma_f64 v[28:29], v[26:27], v[32:33], v[2:3]
	v_mul_lo_u16 v2, 0xcd, v109
	ds_load_b128 v[24:27], v231 offset:9216
	v_lshrrev_b16 v110, 11, v2
	v_mul_lo_u16 v2, v110, 10
	s_delay_alu instid0(VALU_DEP_1) | instskip(NEXT) | instid1(VALU_DEP_1)
	v_sub_nc_u16 v2, v106, v2
	v_dual_mov_b32 v182, v192 :: v_dual_and_b32 v111, 0xff, v2
	s_delay_alu instid0(VALU_DEP_1)
	v_mad_co_u64_u32 v[2:3], null, 0x50, v111, s[10:11]
	s_clause 0x1
	global_load_b128 v[36:39], v[2:3], off offset:32
	global_load_b128 v[44:47], v[2:3], off offset:64
	scratch_store_b128 off, v[32:35], off offset:580 ; 16-byte Folded Spill
	global_load_b128 v[32:35], v[2:3], off
	s_wait_loadcnt 0x2
	scratch_store_b128 off, v[36:39], off offset:628 ; 16-byte Folded Spill
	s_wait_loadcnt 0x1
	scratch_store_b128 off, v[44:47], off offset:660 ; 16-byte Folded Spill
	s_wait_loadcnt_dscnt 0x0
	v_mul_f64_e32 v[6:7], v[26:27], v[34:35]
	v_mul_f64_e32 v[10:11], v[24:25], v[34:35]
	scratch_store_b128 off, v[32:35], off offset:596 ; 16-byte Folded Spill
	v_fma_f64 v[6:7], v[24:25], v[32:33], -v[6:7]
	v_fma_f64 v[10:11], v[26:27], v[32:33], v[10:11]
	global_load_b128 v[32:35], v[2:3], off offset:16
	ds_load_b128 v[24:27], v231 offset:16896
	s_wait_loadcnt_dscnt 0x0
	v_mul_f64_e32 v[14:15], v[26:27], v[34:35]
	v_mul_f64_e32 v[18:19], v[24:25], v[34:35]
	scratch_store_b128 off, v[32:35], off offset:612 ; 16-byte Folded Spill
	v_fma_f64 v[14:15], v[24:25], v[32:33], -v[14:15]
	v_fma_f64 v[18:19], v[26:27], v[32:33], v[18:19]
	ds_load_b128 v[32:35], v231 offset:24576
	s_wait_dscnt 0x0
	v_mul_f64_e32 v[24:25], v[34:35], v[38:39]
	s_delay_alu instid0(VALU_DEP_1)
	v_fma_f64 v[26:27], v[32:33], v[36:37], -v[24:25]
	v_mul_f64_e32 v[24:25], v[32:33], v[38:39]
	global_load_b128 v[38:41], v[2:3], off offset:48
	v_fma_f64 v[24:25], v[34:35], v[36:37], v[24:25]
	ds_load_b128 v[34:37], v231 offset:32256
	s_wait_loadcnt_dscnt 0x0
	v_mul_f64_e32 v[32:33], v[36:37], v[40:41]
	scratch_store_b128 off, v[38:41], off offset:644 ; 16-byte Folded Spill
	v_fma_f64 v[32:33], v[34:35], v[38:39], -v[32:33]
	v_mul_f64_e32 v[34:35], v[34:35], v[40:41]
	ds_load_b128 v[40:43], v231 offset:39936
	s_wait_dscnt 0x0
	v_mul_f64_e32 v[2:3], v[42:43], v[46:47]
	v_add_f64_e32 v[132:133], v[14:15], v[32:33]
	v_fma_f64 v[34:35], v[36:37], v[38:39], v[34:35]
	s_delay_alu instid0(VALU_DEP_3) | instskip(SKIP_1) | instid1(VALU_DEP_1)
	v_fma_f64 v[38:39], v[40:41], v[44:45], -v[2:3]
	v_mul_f64_e32 v[2:3], v[40:41], v[46:47]
	v_fma_f64 v[36:37], v[42:43], v[44:45], v[2:3]
	v_mul_u32_u24_e32 v2, 0xcccd, v107
	ds_load_b128 v[42:45], v231 offset:10752
	v_lshrrev_b32_e32 v114, 19, v2
	s_delay_alu instid0(VALU_DEP_1) | instskip(NEXT) | instid1(VALU_DEP_1)
	v_mul_lo_u16 v2, v114, 10
	v_sub_nc_u16 v115, v105, v2
	s_delay_alu instid0(VALU_DEP_1) | instskip(NEXT) | instid1(VALU_DEP_1)
	v_mul_lo_u16 v2, 0x50, v115
	v_and_b32_e32 v2, 0xffff, v2
	s_delay_alu instid0(VALU_DEP_1)
	v_add_co_u32 v2, s2, s10, v2
	s_wait_alu 0xf1ff
	v_add_co_ci_u32_e64 v3, null, s11, 0, s2
	s_clause 0x3
	global_load_b128 v[46:49], v[2:3], off
	global_load_b128 v[50:53], v[2:3], off offset:16
	global_load_b128 v[56:59], v[2:3], off offset:32
	;; [unrolled: 1-line block ×3, first 2 shown]
	s_wait_loadcnt_dscnt 0x300
	v_mul_f64_e32 v[40:41], v[44:45], v[48:49]
	scratch_store_b128 off, v[46:49], off offset:676 ; 16-byte Folded Spill
	s_wait_loadcnt 0x2
	scratch_store_b128 off, v[50:53], off offset:692 ; 16-byte Folded Spill
	s_wait_loadcnt 0x1
	scratch_store_b128 off, v[56:59], off offset:708 ; 16-byte Folded Spill
	v_fma_f64 v[40:41], v[42:43], v[46:47], -v[40:41]
	v_mul_f64_e32 v[42:43], v[42:43], v[48:49]
	s_delay_alu instid0(VALU_DEP_1) | instskip(SKIP_3) | instid1(VALU_DEP_1)
	v_fma_f64 v[42:43], v[44:45], v[46:47], v[42:43]
	ds_load_b128 v[46:49], v231 offset:18432
	s_wait_dscnt 0x0
	v_mul_f64_e32 v[44:45], v[48:49], v[52:53]
	v_fma_f64 v[44:45], v[46:47], v[50:51], -v[44:45]
	v_mul_f64_e32 v[46:47], v[46:47], v[52:53]
	ds_load_b128 v[52:55], v231 offset:26112
	v_fma_f64 v[46:47], v[48:49], v[50:51], v[46:47]
	s_wait_dscnt 0x0
	v_mul_f64_e32 v[48:49], v[54:55], v[58:59]
	s_delay_alu instid0(VALU_DEP_1)
	v_fma_f64 v[50:51], v[52:53], v[56:57], -v[48:49]
	v_mul_f64_e32 v[48:49], v[52:53], v[58:59]
	global_load_b128 v[58:61], v[2:3], off offset:48
	v_fma_f64 v[48:49], v[54:55], v[56:57], v[48:49]
	ds_load_b128 v[54:57], v231 offset:33792
	s_wait_loadcnt_dscnt 0x0
	v_mul_f64_e32 v[52:53], v[56:57], v[60:61]
	scratch_store_b128 off, v[58:61], off offset:724 ; 16-byte Folded Spill
	v_fma_f64 v[52:53], v[54:55], v[58:59], -v[52:53]
	v_mul_f64_e32 v[54:55], v[54:55], v[60:61]
	s_delay_alu instid0(VALU_DEP_2) | instskip(NEXT) | instid1(VALU_DEP_2)
	v_add_f64_e32 v[140:141], v[44:45], v[52:53]
	v_fma_f64 v[54:55], v[56:57], v[58:59], v[54:55]
	ds_load_b128 v[56:59], v231 offset:41472
	s_wait_dscnt 0x0
	v_mul_f64_e32 v[2:3], v[58:59], v[64:65]
	s_delay_alu instid0(VALU_DEP_1) | instskip(SKIP_1) | instid1(VALU_DEP_1)
	v_fma_f64 v[60:61], v[56:57], v[62:63], -v[2:3]
	v_mul_f64_e32 v[2:3], v[56:57], v[64:65]
	v_fma_f64 v[56:57], v[58:59], v[62:63], v[2:3]
	v_mul_u32_u24_e32 v2, 0xcccd, v108
	s_delay_alu instid0(VALU_DEP_1) | instskip(NEXT) | instid1(VALU_DEP_1)
	v_lshrrev_b32_e32 v116, 19, v2
	v_mul_lo_u16 v2, v116, 10
	s_delay_alu instid0(VALU_DEP_1) | instskip(NEXT) | instid1(VALU_DEP_1)
	v_sub_nc_u16 v117, v104, v2
	v_mul_lo_u16 v2, 0x50, v117
	s_delay_alu instid0(VALU_DEP_1) | instskip(NEXT) | instid1(VALU_DEP_1)
	v_and_b32_e32 v2, 0xffff, v2
	v_add_co_u32 v2, s2, s10, v2
	s_wait_alu 0xf1ff
	v_add_co_ci_u32_e64 v3, null, s11, 0, s2
	s_clause 0x3
	global_load_b128 v[66:69], v[2:3], off
	global_load_b128 v[70:73], v[2:3], off offset:16
	global_load_b128 v[76:79], v[2:3], off offset:32
	;; [unrolled: 1-line block ×3, first 2 shown]
	scratch_store_b128 off, v[62:65], off offset:740 ; 16-byte Folded Spill
	ds_load_b128 v[62:65], v231 offset:12288
	s_wait_loadcnt 0x3
	scratch_store_b128 off, v[66:69], off offset:756 ; 16-byte Folded Spill
	s_wait_dscnt 0x0
	v_mul_f64_e32 v[58:59], v[64:65], v[68:69]
	s_wait_loadcnt 0x2
	scratch_store_b128 off, v[70:73], off offset:772 ; 16-byte Folded Spill
	s_wait_loadcnt 0x1
	scratch_store_b128 off, v[76:79], off offset:788 ; 16-byte Folded Spill
	;; [unrolled: 2-line block ×3, first 2 shown]
	v_fma_f64 v[58:59], v[62:63], v[66:67], -v[58:59]
	v_mul_f64_e32 v[62:63], v[62:63], v[68:69]
	s_delay_alu instid0(VALU_DEP_1) | instskip(SKIP_3) | instid1(VALU_DEP_1)
	v_fma_f64 v[62:63], v[64:65], v[66:67], v[62:63]
	ds_load_b128 v[66:69], v231 offset:19968
	s_wait_dscnt 0x0
	v_mul_f64_e32 v[64:65], v[68:69], v[72:73]
	v_fma_f64 v[64:65], v[66:67], v[70:71], -v[64:65]
	v_mul_f64_e32 v[66:67], v[66:67], v[72:73]
	ds_load_b128 v[72:75], v231 offset:27648
	v_fma_f64 v[66:67], v[68:69], v[70:71], v[66:67]
	s_wait_dscnt 0x0
	v_mul_f64_e32 v[68:69], v[74:75], v[78:79]
	s_delay_alu instid0(VALU_DEP_1)
	v_fma_f64 v[70:71], v[72:73], v[76:77], -v[68:69]
	v_mul_f64_e32 v[68:69], v[72:73], v[78:79]
	global_load_b128 v[78:81], v[2:3], off offset:48
	v_fma_f64 v[68:69], v[74:75], v[76:77], v[68:69]
	ds_load_b128 v[74:77], v231 offset:35328
	s_wait_loadcnt_dscnt 0x0
	v_mul_f64_e32 v[72:73], v[76:77], v[80:81]
	scratch_store_b128 off, v[78:81], off offset:804 ; 16-byte Folded Spill
	v_fma_f64 v[72:73], v[74:75], v[78:79], -v[72:73]
	v_mul_f64_e32 v[74:75], v[74:75], v[80:81]
	ds_load_b128 v[80:83], v231 offset:43008
	s_wait_dscnt 0x0
	v_mul_f64_e32 v[2:3], v[82:83], v[86:87]
	v_add_f64_e32 v[148:149], v[64:65], v[72:73]
	v_fma_f64 v[74:75], v[76:77], v[78:79], v[74:75]
	s_delay_alu instid0(VALU_DEP_3) | instskip(SKIP_1) | instid1(VALU_DEP_1)
	v_fma_f64 v[78:79], v[80:81], v[84:85], -v[2:3]
	v_mul_f64_e32 v[2:3], v[80:81], v[86:87]
	v_fma_f64 v[76:77], v[82:83], v[84:85], v[2:3]
	v_mul_u32_u24_e32 v2, 0xcccd, v199
	ds_load_b128 v[82:85], v231 offset:13824
	v_lshrrev_b32_e32 v118, 19, v2
	s_delay_alu instid0(VALU_DEP_1) | instskip(NEXT) | instid1(VALU_DEP_1)
	v_mul_lo_u16 v2, v118, 10
	v_sub_nc_u16 v119, v199, v2
	s_delay_alu instid0(VALU_DEP_1) | instskip(NEXT) | instid1(VALU_DEP_1)
	v_mul_lo_u16 v2, 0x50, v119
	v_and_b32_e32 v2, 0xffff, v2
	s_delay_alu instid0(VALU_DEP_1)
	v_add_co_u32 v2, s2, s10, v2
	s_wait_alu 0xf1ff
	v_add_co_ci_u32_e64 v3, null, s11, 0, s2
	s_mov_b32 s2, 0xe8584caa
	s_mov_b32 s3, 0x3febb67a
	s_wait_alu 0xfffe
	s_mov_b32 s12, s2
	s_clause 0x4
	global_load_b128 v[86:89], v[2:3], off
	global_load_b128 v[90:93], v[2:3], off offset:16
	global_load_b128 v[96:99], v[2:3], off offset:32
	;; [unrolled: 1-line block ×4, first 2 shown]
	s_wait_loadcnt_dscnt 0x400
	v_mul_f64_e32 v[80:81], v[84:85], v[88:89]
	scratch_store_b128 off, v[86:89], off offset:840 ; 16-byte Folded Spill
	s_wait_loadcnt 0x3
	scratch_store_b128 off, v[90:93], off offset:856 ; 16-byte Folded Spill
	s_wait_loadcnt 0x2
	;; [unrolled: 2-line block ×4, first 2 shown]
	scratch_store_b128 off, v[124:127], off offset:904 ; 16-byte Folded Spill
	v_fma_f64 v[80:81], v[82:83], v[86:87], -v[80:81]
	v_mul_f64_e32 v[82:83], v[82:83], v[88:89]
	s_delay_alu instid0(VALU_DEP_1) | instskip(SKIP_3) | instid1(VALU_DEP_1)
	v_fma_f64 v[82:83], v[84:85], v[86:87], v[82:83]
	ds_load_b128 v[86:89], v231 offset:21504
	s_wait_dscnt 0x0
	v_mul_f64_e32 v[84:85], v[88:89], v[92:93]
	v_fma_f64 v[84:85], v[86:87], v[90:91], -v[84:85]
	v_mul_f64_e32 v[86:87], v[86:87], v[92:93]
	ds_load_b128 v[92:95], v231 offset:29184
	v_fma_f64 v[86:87], v[88:89], v[90:91], v[86:87]
	s_wait_dscnt 0x0
	v_mul_f64_e32 v[88:89], v[94:95], v[98:99]
	s_delay_alu instid0(VALU_DEP_1) | instskip(SKIP_1) | instid1(VALU_DEP_1)
	v_fma_f64 v[90:91], v[92:93], v[96:97], -v[88:89]
	v_mul_f64_e32 v[88:89], v[92:93], v[98:99]
	v_fma_f64 v[88:89], v[94:95], v[96:97], v[88:89]
	ds_load_b128 v[94:97], v231 offset:36864
	s_wait_dscnt 0x0
	v_mul_f64_e32 v[92:93], v[96:97], v[122:123]
	s_delay_alu instid0(VALU_DEP_1) | instskip(SKIP_1) | instid1(VALU_DEP_2)
	v_fma_f64 v[92:93], v[94:95], v[120:121], -v[92:93]
	v_mul_f64_e32 v[94:95], v[94:95], v[122:123]
	v_add_f64_e32 v[156:157], v[84:85], v[92:93]
	s_delay_alu instid0(VALU_DEP_2) | instskip(SKIP_3) | instid1(VALU_DEP_1)
	v_fma_f64 v[94:95], v[96:97], v[120:121], v[94:95]
	ds_load_b128 v[120:123], v231 offset:44544
	s_wait_dscnt 0x0
	v_mul_f64_e32 v[2:3], v[122:123], v[126:127]
	v_fma_f64 v[98:99], v[120:121], v[124:125], -v[2:3]
	v_mul_f64_e32 v[2:3], v[120:121], v[126:127]
	s_delay_alu instid0(VALU_DEP_1)
	v_fma_f64 v[96:97], v[122:123], v[124:125], v[2:3]
	v_add_f64_e32 v[2:3], v[4:5], v[20:21]
	ds_load_b128 v[120:123], v231
	s_wait_dscnt 0x0
	v_fma_f64 v[102:103], v[102:103], -0.5, v[122:123]
	v_add_f64_e32 v[122:123], v[122:123], v[8:9]
	v_add_f64_e64 v[8:9], v[8:9], -v[22:23]
	v_fma_f64 v[2:3], v[2:3], -0.5, v[120:121]
	v_add_f64_e32 v[120:121], v[120:121], v[4:5]
	v_add_f64_e64 v[4:5], v[4:5], -v[20:21]
	v_add_f64_e32 v[126:127], v[122:123], v[22:23]
	s_delay_alu instid0(VALU_DEP_3) | instskip(SKIP_1) | instid1(VALU_DEP_1)
	v_add_f64_e32 v[124:125], v[120:121], v[20:21]
	v_add_f64_e32 v[120:121], v[0:1], v[16:17]
	;; [unrolled: 1-line block ×4, first 2 shown]
	s_delay_alu instid0(VALU_DEP_1) | instskip(NEXT) | instid1(VALU_DEP_3)
	v_add_f64_e32 v[130:131], v[120:121], v[28:29]
	v_add_f64_e32 v[120:121], v[124:125], v[128:129]
	v_add_f64_e64 v[124:125], v[124:125], -v[128:129]
	s_delay_alu instid0(VALU_DEP_3)
	v_add_f64_e32 v[122:123], v[126:127], v[130:131]
	v_add_f64_e64 v[126:127], v[126:127], -v[130:131]
	ds_load_b128 v[128:131], v231 offset:1536
	s_wait_dscnt 0x0
	v_fma_f64 v[160:161], v[132:133], -0.5, v[128:129]
	v_add_f64_e32 v[132:133], v[18:19], v[34:35]
	v_add_f64_e32 v[128:129], v[128:129], v[14:15]
	v_add_f64_e64 v[14:15], v[14:15], -v[32:33]
	s_delay_alu instid0(VALU_DEP_3) | instskip(NEXT) | instid1(VALU_DEP_3)
	v_fma_f64 v[162:163], v[132:133], -0.5, v[130:131]
	v_add_f64_e32 v[132:133], v[128:129], v[32:33]
	v_add_f64_e32 v[128:129], v[6:7], v[26:27]
	;; [unrolled: 1-line block ×3, first 2 shown]
	s_delay_alu instid0(VALU_DEP_2) | instskip(SKIP_1) | instid1(VALU_DEP_3)
	v_add_f64_e32 v[136:137], v[128:129], v[38:39]
	v_add_f64_e32 v[128:129], v[10:11], v[24:25]
	;; [unrolled: 1-line block ×3, first 2 shown]
	s_delay_alu instid0(VALU_DEP_2) | instskip(NEXT) | instid1(VALU_DEP_4)
	v_add_f64_e32 v[138:139], v[128:129], v[36:37]
	v_add_f64_e32 v[128:129], v[132:133], v[136:137]
	v_add_f64_e64 v[132:133], v[132:133], -v[136:137]
	s_delay_alu instid0(VALU_DEP_3)
	v_add_f64_e32 v[130:131], v[134:135], v[138:139]
	v_add_f64_e64 v[134:135], v[134:135], -v[138:139]
	ds_load_b128 v[136:139], v231 offset:3072
	s_wait_dscnt 0x0
	v_fma_f64 v[166:167], v[140:141], -0.5, v[136:137]
	v_add_f64_e32 v[140:141], v[46:47], v[54:55]
	v_add_f64_e32 v[136:137], v[136:137], v[44:45]
	s_delay_alu instid0(VALU_DEP_2) | instskip(NEXT) | instid1(VALU_DEP_2)
	v_fma_f64 v[168:169], v[140:141], -0.5, v[138:139]
	v_add_f64_e32 v[140:141], v[136:137], v[52:53]
	v_add_f64_e32 v[136:137], v[40:41], v[50:51]
	;; [unrolled: 1-line block ×3, first 2 shown]
	s_delay_alu instid0(VALU_DEP_2) | instskip(SKIP_1) | instid1(VALU_DEP_3)
	v_add_f64_e32 v[144:145], v[136:137], v[60:61]
	v_add_f64_e32 v[136:137], v[42:43], v[48:49]
	;; [unrolled: 1-line block ×3, first 2 shown]
	s_delay_alu instid0(VALU_DEP_2) | instskip(NEXT) | instid1(VALU_DEP_4)
	v_add_f64_e32 v[146:147], v[136:137], v[56:57]
	v_add_f64_e32 v[136:137], v[140:141], v[144:145]
	v_add_f64_e64 v[140:141], v[140:141], -v[144:145]
	s_delay_alu instid0(VALU_DEP_3)
	v_add_f64_e32 v[138:139], v[142:143], v[146:147]
	v_add_f64_e64 v[142:143], v[142:143], -v[146:147]
	ds_load_b128 v[144:147], v231 offset:4608
	s_wait_dscnt 0x0
	v_fma_f64 v[170:171], v[148:149], -0.5, v[144:145]
	v_add_f64_e32 v[148:149], v[66:67], v[74:75]
	v_add_f64_e32 v[144:145], v[144:145], v[64:65]
	s_delay_alu instid0(VALU_DEP_2) | instskip(NEXT) | instid1(VALU_DEP_2)
	v_fma_f64 v[172:173], v[148:149], -0.5, v[146:147]
	v_add_f64_e32 v[148:149], v[144:145], v[72:73]
	v_add_f64_e32 v[144:145], v[58:59], v[70:71]
	;; [unrolled: 1-line block ×3, first 2 shown]
	s_delay_alu instid0(VALU_DEP_2) | instskip(SKIP_1) | instid1(VALU_DEP_3)
	v_add_f64_e32 v[152:153], v[144:145], v[78:79]
	v_add_f64_e32 v[144:145], v[62:63], v[68:69]
	;; [unrolled: 1-line block ×3, first 2 shown]
	s_delay_alu instid0(VALU_DEP_2) | instskip(NEXT) | instid1(VALU_DEP_4)
	v_add_f64_e32 v[154:155], v[144:145], v[76:77]
	v_add_f64_e32 v[144:145], v[148:149], v[152:153]
	v_add_f64_e64 v[148:149], v[148:149], -v[152:153]
	s_delay_alu instid0(VALU_DEP_3)
	v_add_f64_e32 v[146:147], v[150:151], v[154:155]
	v_add_f64_e64 v[150:151], v[150:151], -v[154:155]
	ds_load_b128 v[152:155], v231 offset:6144
	global_wb scope:SCOPE_SE
	s_wait_storecnt_dscnt 0x0
	s_barrier_signal -1
	s_barrier_wait -1
	global_inv scope:SCOPE_SE
	v_fma_f64 v[174:175], v[156:157], -0.5, v[152:153]
	v_add_f64_e32 v[156:157], v[86:87], v[94:95]
	v_add_f64_e32 v[152:153], v[152:153], v[84:85]
	s_delay_alu instid0(VALU_DEP_2) | instskip(NEXT) | instid1(VALU_DEP_2)
	v_fma_f64 v[176:177], v[156:157], -0.5, v[154:155]
	v_add_f64_e32 v[156:157], v[152:153], v[92:93]
	v_add_f64_e32 v[152:153], v[80:81], v[90:91]
	;; [unrolled: 1-line block ×3, first 2 shown]
	s_delay_alu instid0(VALU_DEP_2) | instskip(SKIP_1) | instid1(VALU_DEP_3)
	v_add_f64_e32 v[178:179], v[152:153], v[98:99]
	v_add_f64_e32 v[152:153], v[82:83], v[88:89]
	;; [unrolled: 1-line block ×3, first 2 shown]
	s_delay_alu instid0(VALU_DEP_2) | instskip(NEXT) | instid1(VALU_DEP_4)
	v_add_f64_e32 v[180:181], v[152:153], v[96:97]
	v_add_f64_e32 v[152:153], v[156:157], v[178:179]
	v_add_f64_e64 v[156:157], v[156:157], -v[178:179]
	v_add_lshl_u32 v178, v112, v113, 4
	v_add_f64_e32 v[112:113], v[16:17], v[30:31]
	v_add_f64_e64 v[16:17], v[16:17], -v[30:31]
	v_add_f64_e32 v[30:31], v[12:13], v[28:29]
	v_add_f64_e64 v[12:13], v[12:13], -v[28:29]
	ds_store_b128 v178, v[120:123]
	ds_store_b128 v178, v[124:127] offset:480
	s_wait_alu 0xfffe
	v_fma_f64 v[120:121], v[4:5], s[12:13], v[102:103]
	v_fma_f64 v[4:5], v[4:5], s[2:3], v[102:103]
	scratch_store_b32 off, v178, off offset:1148 ; 4-byte Folded Spill
	v_add_f64_e32 v[154:155], v[158:159], v[180:181]
	v_add_f64_e64 v[158:159], v[158:159], -v[180:181]
	v_fma_f64 v[0:1], v[112:113], -0.5, v[0:1]
	v_fma_f64 v[112:113], v[8:9], s[2:3], v[2:3]
	v_fma_f64 v[100:101], v[30:31], -0.5, v[100:101]
	v_fma_f64 v[2:3], v[8:9], s[12:13], v[2:3]
	s_delay_alu instid0(VALU_DEP_4) | instskip(SKIP_1) | instid1(VALU_DEP_4)
	v_fma_f64 v[22:23], v[12:13], s[2:3], v[0:1]
	v_fma_f64 v[0:1], v[12:13], s[12:13], v[0:1]
	v_fma_f64 v[20:21], v[16:17], s[12:13], v[100:101]
	v_fma_f64 v[8:9], v[16:17], s[2:3], v[100:101]
	v_add_f64_e64 v[16:17], v[18:19], -v[34:35]
	v_add_f64_e64 v[18:19], v[24:25], -v[36:37]
	v_mul_f64_e32 v[12:13], -0.5, v[0:1]
	v_mul_f64_e32 v[28:29], s[2:3], v[20:21]
	s_delay_alu instid0(VALU_DEP_2) | instskip(SKIP_1) | instid1(VALU_DEP_3)
	v_fma_f64 v[12:13], v[8:9], s[2:3], v[12:13]
	v_mul_f64_e32 v[8:9], -0.5, v[8:9]
	v_fma_f64 v[28:29], v[22:23], 0.5, v[28:29]
	v_mul_f64_e32 v[22:23], s[12:13], v[22:23]
	s_delay_alu instid0(VALU_DEP_4) | instskip(NEXT) | instid1(VALU_DEP_4)
	v_add_f64_e64 v[124:125], v[2:3], -v[12:13]
	v_fma_f64 v[0:1], v[0:1], s[12:13], v[8:9]
	s_delay_alu instid0(VALU_DEP_3) | instskip(SKIP_2) | instid1(VALU_DEP_4)
	v_fma_f64 v[30:31], v[20:21], 0.5, v[22:23]
	v_add_f64_e32 v[20:21], v[112:113], v[28:29]
	v_add_f64_e64 v[28:29], v[112:113], -v[28:29]
	v_add_f64_e32 v[122:123], v[4:5], v[0:1]
	v_add_f64_e64 v[126:127], v[4:5], -v[0:1]
	v_add_f64_e32 v[4:5], v[24:25], v[36:37]
	v_add_f64_e32 v[22:23], v[120:121], v[30:31]
	v_add_f64_e64 v[30:31], v[120:121], -v[30:31]
	v_add_f64_e32 v[120:121], v[2:3], v[12:13]
	v_add_f64_e32 v[0:1], v[26:27], v[38:39]
	v_add_f64_e64 v[2:3], v[26:27], -v[38:39]
	v_fma_f64 v[24:25], v[16:17], s[2:3], v[160:161]
	v_fma_f64 v[16:17], v[16:17], s[12:13], v[160:161]
	;; [unrolled: 1-line block ×3, first 2 shown]
	v_add_f64_e64 v[38:39], v[46:47], -v[54:55]
	v_add_f64_e64 v[54:55], v[66:67], -v[74:75]
	;; [unrolled: 1-line block ×3, first 2 shown]
	ds_store_b128 v178, v[20:23] offset:160
	ds_store_b128 v178, v[120:123] offset:320
	;; [unrolled: 1-line block ×4, first 2 shown]
	v_fma_f64 v[12:13], v[4:5], -0.5, v[10:11]
	v_fma_f64 v[0:1], v[0:1], -0.5, v[6:7]
	s_delay_alu instid0(VALU_DEP_2) | instskip(NEXT) | instid1(VALU_DEP_2)
	v_fma_f64 v[4:5], v[2:3], s[12:13], v[12:13]
	v_fma_f64 v[6:7], v[18:19], s[2:3], v[0:1]
	;; [unrolled: 1-line block ×5, first 2 shown]
	v_mul_f64_e32 v[8:9], s[2:3], v[4:5]
	s_delay_alu instid0(VALU_DEP_4) | instskip(NEXT) | instid1(VALU_DEP_2)
	v_mul_f64_e32 v[12:13], -0.5, v[0:1]
	v_fma_f64 v[8:9], v[6:7], 0.5, v[8:9]
	v_mul_f64_e32 v[6:7], s[12:13], v[6:7]
	s_delay_alu instid0(VALU_DEP_1) | instskip(NEXT) | instid1(VALU_DEP_3)
	v_fma_f64 v[10:11], v[4:5], 0.5, v[6:7]
	v_add_f64_e32 v[4:5], v[24:25], v[8:9]
	v_add_f64_e64 v[8:9], v[24:25], -v[8:9]
	v_fma_f64 v[24:25], v[2:3], s[2:3], v[12:13]
	v_mul_f64_e32 v[2:3], -0.5, v[2:3]
	v_add_f64_e32 v[6:7], v[26:27], v[10:11]
	v_add_f64_e64 v[10:11], v[26:27], -v[10:11]
	s_delay_alu instid0(VALU_DEP_4) | instskip(NEXT) | instid1(VALU_DEP_4)
	v_add_f64_e32 v[12:13], v[16:17], v[24:25]
	v_fma_f64 v[0:1], v[0:1], s[12:13], v[2:3]
	v_add_f64_e64 v[16:17], v[16:17], -v[24:25]
	v_add_f64_e32 v[24:25], v[48:49], v[56:57]
	v_add_f64_e64 v[2:3], v[50:51], -v[60:61]
	s_delay_alu instid0(VALU_DEP_4)
	v_add_f64_e32 v[14:15], v[18:19], v[0:1]
	v_add_f64_e64 v[18:19], v[18:19], -v[0:1]
	v_add_f64_e32 v[0:1], v[50:51], v[60:61]
	v_fma_f64 v[36:37], v[24:25], -0.5, v[42:43]
	v_add_f64_e64 v[42:43], v[44:45], -v[52:53]
	v_add_f64_e64 v[44:45], v[48:49], -v[56:57]
	;; [unrolled: 1-line block ×5, first 2 shown]
	v_fma_f64 v[0:1], v[0:1], -0.5, v[40:41]
	v_fma_f64 v[24:25], v[2:3], s[12:13], v[36:37]
	v_fma_f64 v[2:3], v[2:3], s[2:3], v[36:37]
	;; [unrolled: 1-line block ×7, first 2 shown]
	v_mul_f64_e32 v[32:33], s[2:3], v[24:25]
	s_delay_alu instid0(VALU_DEP_2) | instskip(NEXT) | instid1(VALU_DEP_2)
	v_mul_f64_e32 v[36:37], -0.5, v[0:1]
	v_fma_f64 v[32:33], v[26:27], 0.5, v[32:33]
	v_mul_f64_e32 v[26:27], s[12:13], v[26:27]
	s_delay_alu instid0(VALU_DEP_3) | instskip(SKIP_1) | instid1(VALU_DEP_3)
	v_fma_f64 v[44:45], v[2:3], s[2:3], v[36:37]
	v_mul_f64_e32 v[2:3], -0.5, v[2:3]
	v_fma_f64 v[34:35], v[24:25], 0.5, v[26:27]
	v_add_f64_e32 v[24:25], v[40:41], v[32:33]
	v_add_f64_e64 v[32:33], v[40:41], -v[32:33]
	v_fma_f64 v[40:41], v[38:39], s[12:13], v[166:167]
	v_fma_f64 v[0:1], v[0:1], s[12:13], v[2:3]
	v_add_f64_e64 v[2:3], v[70:71], -v[78:79]
	v_add_f64_e32 v[26:27], v[46:47], v[34:35]
	v_add_f64_e64 v[34:35], v[46:47], -v[34:35]
	v_add_f64_e32 v[36:37], v[40:41], v[44:45]
	;; [unrolled: 2-line block ×3, first 2 shown]
	v_add_f64_e32 v[38:39], v[42:43], v[0:1]
	v_add_f64_e64 v[42:43], v[42:43], -v[0:1]
	v_add_f64_e32 v[0:1], v[70:71], v[78:79]
	v_add_f64_e64 v[70:71], v[86:87], -v[94:95]
	v_fma_f64 v[78:79], v[72:73], s[12:13], v[176:177]
	v_fma_f64 v[52:53], v[44:45], -0.5, v[62:63]
	v_fma_f64 v[62:63], v[56:57], s[12:13], v[172:173]
	v_fma_f64 v[0:1], v[0:1], -0.5, v[58:59]
	v_fma_f64 v[58:59], v[54:55], s[2:3], v[170:171]
	v_fma_f64 v[76:77], v[70:71], s[2:3], v[174:175]
	v_fma_f64 v[44:45], v[2:3], s[12:13], v[52:53]
	v_fma_f64 v[2:3], v[2:3], s[2:3], v[52:53]
	v_fma_f64 v[46:47], v[60:61], s[2:3], v[0:1]
	v_fma_f64 v[0:1], v[60:61], s[12:13], v[0:1]
	v_fma_f64 v[60:61], v[56:57], s[2:3], v[172:173]
	v_mul_f64_e32 v[48:49], s[2:3], v[44:45]
	s_delay_alu instid0(VALU_DEP_3) | instskip(NEXT) | instid1(VALU_DEP_2)
	v_mul_f64_e32 v[52:53], -0.5, v[0:1]
	v_fma_f64 v[48:49], v[46:47], 0.5, v[48:49]
	v_mul_f64_e32 v[46:47], s[12:13], v[46:47]
	s_delay_alu instid0(VALU_DEP_3) | instskip(SKIP_1) | instid1(VALU_DEP_3)
	v_fma_f64 v[56:57], v[2:3], s[2:3], v[52:53]
	v_mul_f64_e32 v[2:3], -0.5, v[2:3]
	v_fma_f64 v[50:51], v[44:45], 0.5, v[46:47]
	v_add_f64_e32 v[44:45], v[58:59], v[48:49]
	v_add_f64_e64 v[48:49], v[58:59], -v[48:49]
	v_fma_f64 v[58:59], v[54:55], s[12:13], v[170:171]
	v_fma_f64 v[0:1], v[0:1], s[12:13], v[2:3]
	v_add_f64_e64 v[2:3], v[90:91], -v[98:99]
	v_add_f64_e32 v[46:47], v[62:63], v[50:51]
	v_add_f64_e64 v[50:51], v[62:63], -v[50:51]
	v_add_f64_e32 v[52:53], v[58:59], v[56:57]
	;; [unrolled: 2-line block ×4, first 2 shown]
	v_add_f64_e32 v[0:1], v[90:91], v[98:99]
	s_delay_alu instid0(VALU_DEP_2) | instskip(NEXT) | instid1(VALU_DEP_2)
	v_fma_f64 v[68:69], v[60:61], -0.5, v[82:83]
	v_fma_f64 v[0:1], v[0:1], -0.5, v[80:81]
	s_delay_alu instid0(VALU_DEP_2) | instskip(NEXT) | instid1(VALU_DEP_2)
	v_fma_f64 v[60:61], v[2:3], s[12:13], v[68:69]
	v_fma_f64 v[62:63], v[74:75], s[2:3], v[0:1]
	;; [unrolled: 1-line block ×5, first 2 shown]
	v_mul_f64_e32 v[64:65], s[2:3], v[60:61]
	s_delay_alu instid0(VALU_DEP_4) | instskip(NEXT) | instid1(VALU_DEP_2)
	v_mul_f64_e32 v[68:69], -0.5, v[0:1]
	v_fma_f64 v[64:65], v[62:63], 0.5, v[64:65]
	v_mul_f64_e32 v[62:63], s[12:13], v[62:63]
	s_delay_alu instid0(VALU_DEP_1) | instskip(NEXT) | instid1(VALU_DEP_3)
	v_fma_f64 v[66:67], v[60:61], 0.5, v[62:63]
	v_add_f64_e32 v[60:61], v[76:77], v[64:65]
	v_add_f64_e64 v[64:65], v[76:77], -v[64:65]
	v_fma_f64 v[76:77], v[72:73], s[2:3], v[176:177]
	v_fma_f64 v[72:73], v[2:3], s[2:3], v[68:69]
	v_mul_f64_e32 v[2:3], -0.5, v[2:3]
	v_add_f64_e32 v[62:63], v[78:79], v[66:67]
	v_add_f64_e64 v[66:67], v[78:79], -v[66:67]
	s_delay_alu instid0(VALU_DEP_4) | instskip(NEXT) | instid1(VALU_DEP_4)
	v_add_f64_e32 v[68:69], v[74:75], v[72:73]
	v_fma_f64 v[0:1], v[0:1], s[12:13], v[2:3]
	v_add_f64_e64 v[72:73], v[74:75], -v[72:73]
	s_delay_alu instid0(VALU_DEP_2) | instskip(SKIP_2) | instid1(VALU_DEP_1)
	v_add_f64_e32 v[70:71], v[76:77], v[0:1]
	v_add_f64_e64 v[74:75], v[76:77], -v[0:1]
	v_and_b32_e32 v0, 0xffff, v110
	v_mul_u32_u24_e32 v0, 60, v0
	s_delay_alu instid0(VALU_DEP_1)
	v_add_lshl_u32 v183, v0, v111, 4
	v_mad_u16 v0, v114, 60, v115
	ds_store_b128 v183, v[128:131]
	ds_store_b128 v183, v[4:7] offset:160
	ds_store_b128 v183, v[12:15] offset:320
	;; [unrolled: 1-line block ×5, first 2 shown]
	v_and_b32_e32 v0, 0xffff, v0
	s_delay_alu instid0(VALU_DEP_1)
	v_lshlrev_b32_e32 v0, 4, v0
	scratch_store_b32 off, v0, off offset:1252 ; 4-byte Folded Spill
	ds_store_b128 v0, v[136:139]
	ds_store_b128 v0, v[24:27] offset:160
	ds_store_b128 v0, v[36:39] offset:320
	;; [unrolled: 1-line block ×5, first 2 shown]
	v_mad_u16 v0, v116, 60, v117
	s_delay_alu instid0(VALU_DEP_1) | instskip(NEXT) | instid1(VALU_DEP_1)
	v_and_b32_e32 v0, 0xffff, v0
	v_lshlrev_b32_e32 v0, 4, v0
	scratch_store_b32 off, v0, off offset:1000 ; 4-byte Folded Spill
	ds_store_b128 v0, v[144:147]
	ds_store_b128 v0, v[44:47] offset:160
	ds_store_b128 v0, v[52:55] offset:320
	ds_store_b128 v0, v[148:151] offset:480
	ds_store_b128 v0, v[48:51] offset:640
	ds_store_b128 v0, v[56:59] offset:800
	v_mad_u16 v0, v118, 60, v119
	s_delay_alu instid0(VALU_DEP_1) | instskip(NEXT) | instid1(VALU_DEP_1)
	v_and_b32_e32 v0, 0xffff, v0
	v_lshlrev_b32_e32 v0, 4, v0
	ds_store_b128 v0, v[152:155]
	ds_store_b128 v0, v[60:63] offset:160
	ds_store_b128 v0, v[68:71] offset:320
	ds_store_b128 v0, v[156:159] offset:480
	ds_store_b128 v0, v[64:67] offset:640
	scratch_store_b32 off, v0, off offset:1248 ; 4-byte Folded Spill
	ds_store_b128 v0, v[72:75] offset:800
	v_subrev_nc_u32_e32 v0, 60, v198
	global_wb scope:SCOPE_SE
	s_wait_storecnt_dscnt 0x0
	s_barrier_signal -1
	s_barrier_wait -1
	global_inv scope:SCOPE_SE
	v_cndmask_b32_e32 v110, v0, v198, vcc_lo
	ds_load_b128 v[4:7], v231 offset:7680
	scratch_store_b32 off, v199, off offset:512 ; 4-byte Folded Spill
	v_mul_i32_i24_e32 v0, 0x50, v110
	v_mul_hi_i32_i24_e32 v1, 0x50, v110
	s_delay_alu instid0(VALU_DEP_2) | instskip(SKIP_1) | instid1(VALU_DEP_2)
	v_add_co_u32 v2, vcc_lo, s10, v0
	s_wait_alu 0xfffd
	v_add_co_ci_u32_e32 v3, vcc_lo, s11, v1, vcc_lo
	v_cmp_lt_u16_e64 vcc_lo, 59, v220
	s_clause 0x2
	global_load_b128 v[8:11], v[2:3], off offset:800
	global_load_b128 v[16:19], v[2:3], off offset:832
	global_load_b128 v[22:25], v[2:3], off offset:864
	s_wait_loadcnt_dscnt 0x200
	v_mul_f64_e32 v[0:1], v[6:7], v[10:11]
	scratch_store_b128 off, v[8:11], off offset:920 ; 16-byte Folded Spill
	s_wait_loadcnt 0x1
	scratch_store_b128 off, v[16:19], off offset:952 ; 16-byte Folded Spill
	s_wait_loadcnt 0x0
	scratch_store_b128 off, v[22:25], off offset:984 ; 16-byte Folded Spill
	v_fma_f64 v[0:1], v[4:5], v[8:9], -v[0:1]
	v_mul_f64_e32 v[4:5], v[4:5], v[10:11]
	global_load_b128 v[10:13], v[2:3], off offset:816
	v_fma_f64 v[100:101], v[6:7], v[8:9], v[4:5]
	ds_load_b128 v[6:9], v231 offset:15360
	s_wait_loadcnt_dscnt 0x0
	v_mul_f64_e32 v[4:5], v[8:9], v[12:13]
	scratch_store_b128 off, v[10:13], off offset:936 ; 16-byte Folded Spill
	v_fma_f64 v[4:5], v[6:7], v[10:11], -v[4:5]
	v_mul_f64_e32 v[6:7], v[6:7], v[12:13]
	ds_load_b128 v[12:15], v231 offset:23040
	v_fma_f64 v[6:7], v[8:9], v[10:11], v[6:7]
	s_wait_dscnt 0x0
	v_mul_f64_e32 v[8:9], v[14:15], v[18:19]
	s_delay_alu instid0(VALU_DEP_1)
	v_fma_f64 v[10:11], v[12:13], v[16:17], -v[8:9]
	v_mul_f64_e32 v[8:9], v[12:13], v[18:19]
	global_load_b128 v[18:21], v[2:3], off offset:848
	v_fma_f64 v[8:9], v[14:15], v[16:17], v[8:9]
	ds_load_b128 v[14:17], v231 offset:30720
	s_wait_loadcnt_dscnt 0x0
	v_mul_f64_e32 v[12:13], v[16:17], v[20:21]
	scratch_store_b128 off, v[18:21], off offset:968 ; 16-byte Folded Spill
	v_fma_f64 v[12:13], v[14:15], v[18:19], -v[12:13]
	v_mul_f64_e32 v[14:15], v[14:15], v[20:21]
	s_delay_alu instid0(VALU_DEP_1) | instskip(SKIP_4) | instid1(VALU_DEP_2)
	v_fma_f64 v[14:15], v[16:17], v[18:19], v[14:15]
	ds_load_b128 v[16:19], v231 offset:38400
	s_wait_dscnt 0x0
	v_mul_f64_e32 v[2:3], v[18:19], v[24:25]
	v_add_f64_e32 v[102:103], v[6:7], v[14:15]
	v_fma_f64 v[20:21], v[16:17], v[22:23], -v[2:3]
	v_mul_f64_e32 v[2:3], v[16:17], v[24:25]
	s_delay_alu instid0(VALU_DEP_1) | instskip(SKIP_3) | instid1(VALU_DEP_1)
	v_fma_f64 v[18:19], v[18:19], v[22:23], v[2:3]
	v_mul_lo_u16 v2, 0x89, v109
	ds_load_b128 v[22:25], v231 offset:9216
	v_lshrrev_b16 v109, 13, v2
	v_mul_lo_u16 v2, v109, 60
	s_delay_alu instid0(VALU_DEP_1) | instskip(NEXT) | instid1(VALU_DEP_1)
	v_sub_nc_u16 v2, v106, v2
	v_and_b32_e32 v106, 0xff, v2
	s_delay_alu instid0(VALU_DEP_1)
	v_mad_co_u64_u32 v[2:3], null, 0x50, v106, s[10:11]
	s_clause 0x3
	global_load_b128 v[26:29], v[2:3], off offset:800
	global_load_b128 v[30:33], v[2:3], off offset:816
	;; [unrolled: 1-line block ×4, first 2 shown]
	s_wait_loadcnt_dscnt 0x300
	v_mul_f64_e32 v[16:17], v[24:25], v[28:29]
	scratch_store_b128 off, v[26:29], off offset:1004 ; 16-byte Folded Spill
	s_wait_loadcnt 0x2
	scratch_store_b128 off, v[30:33], off offset:1020 ; 16-byte Folded Spill
	s_wait_loadcnt 0x1
	scratch_store_b128 off, v[36:39], off offset:1036 ; 16-byte Folded Spill
	v_fma_f64 v[16:17], v[22:23], v[26:27], -v[16:17]
	v_mul_f64_e32 v[22:23], v[22:23], v[28:29]
	s_delay_alu instid0(VALU_DEP_1) | instskip(SKIP_3) | instid1(VALU_DEP_1)
	v_fma_f64 v[22:23], v[24:25], v[26:27], v[22:23]
	ds_load_b128 v[26:29], v231 offset:16896
	s_wait_dscnt 0x0
	v_mul_f64_e32 v[24:25], v[28:29], v[32:33]
	v_fma_f64 v[24:25], v[26:27], v[30:31], -v[24:25]
	v_mul_f64_e32 v[26:27], v[26:27], v[32:33]
	ds_load_b128 v[32:35], v231 offset:24576
	v_fma_f64 v[26:27], v[28:29], v[30:31], v[26:27]
	s_wait_dscnt 0x0
	v_mul_f64_e32 v[28:29], v[34:35], v[38:39]
	s_delay_alu instid0(VALU_DEP_1)
	v_fma_f64 v[30:31], v[32:33], v[36:37], -v[28:29]
	v_mul_f64_e32 v[28:29], v[32:33], v[38:39]
	global_load_b128 v[38:41], v[2:3], off offset:848
	v_fma_f64 v[28:29], v[34:35], v[36:37], v[28:29]
	ds_load_b128 v[34:37], v231 offset:32256
	s_wait_loadcnt_dscnt 0x0
	v_mul_f64_e32 v[32:33], v[36:37], v[40:41]
	scratch_store_b128 off, v[38:41], off offset:1052 ; 16-byte Folded Spill
	v_fma_f64 v[32:33], v[34:35], v[38:39], -v[32:33]
	v_mul_f64_e32 v[34:35], v[34:35], v[40:41]
	ds_load_b128 v[40:43], v231 offset:39936
	s_wait_dscnt 0x0
	v_mul_f64_e32 v[2:3], v[42:43], v[46:47]
	v_add_f64_e32 v[126:127], v[24:25], v[32:33]
	v_fma_f64 v[34:35], v[36:37], v[38:39], v[34:35]
	s_delay_alu instid0(VALU_DEP_3) | instskip(SKIP_1) | instid1(VALU_DEP_1)
	v_fma_f64 v[38:39], v[40:41], v[44:45], -v[2:3]
	v_mul_f64_e32 v[2:3], v[40:41], v[46:47]
	v_fma_f64 v[36:37], v[42:43], v[44:45], v[2:3]
	v_mul_u32_u24_e32 v2, 0x8889, v107
	s_delay_alu instid0(VALU_DEP_1) | instskip(NEXT) | instid1(VALU_DEP_1)
	v_lshrrev_b32_e32 v107, 21, v2
	v_mul_lo_u16 v2, v107, 60
	s_delay_alu instid0(VALU_DEP_1) | instskip(NEXT) | instid1(VALU_DEP_1)
	v_sub_nc_u16 v105, v105, v2
	v_mul_lo_u16 v2, 0x50, v105
	s_delay_alu instid0(VALU_DEP_1) | instskip(NEXT) | instid1(VALU_DEP_1)
	v_and_b32_e32 v2, 0xffff, v2
	v_add_co_u32 v2, s31, s10, v2
	s_delay_alu instid0(VALU_DEP_1)
	v_add_co_ci_u32_e64 v3, null, s11, 0, s31
	s_clause 0x1
	global_load_b128 v[50:53], v[2:3], off offset:816
	global_load_b128 v[62:65], v[2:3], off offset:864
	scratch_store_b128 off, v[44:47], off offset:1068 ; 16-byte Folded Spill
	s_clause 0x1
	global_load_b128 v[46:49], v[2:3], off offset:800
	global_load_b128 v[56:59], v[2:3], off offset:832
	ds_load_b128 v[42:45], v231 offset:10752
	s_wait_loadcnt 0x3
	scratch_store_b128 off, v[50:53], off offset:1100 ; 16-byte Folded Spill
	s_wait_loadcnt 0x2
	scratch_store_b128 off, v[62:65], off offset:1152 ; 16-byte Folded Spill
	s_wait_loadcnt_dscnt 0x100
	v_mul_f64_e32 v[40:41], v[44:45], v[48:49]
	scratch_store_b128 off, v[46:49], off offset:1084 ; 16-byte Folded Spill
	s_wait_loadcnt 0x0
	scratch_store_b128 off, v[56:59], off offset:1116 ; 16-byte Folded Spill
	v_fma_f64 v[40:41], v[42:43], v[46:47], -v[40:41]
	v_mul_f64_e32 v[42:43], v[42:43], v[48:49]
	s_delay_alu instid0(VALU_DEP_1) | instskip(SKIP_3) | instid1(VALU_DEP_1)
	v_fma_f64 v[42:43], v[44:45], v[46:47], v[42:43]
	ds_load_b128 v[46:49], v231 offset:18432
	s_wait_dscnt 0x0
	v_mul_f64_e32 v[44:45], v[48:49], v[52:53]
	v_fma_f64 v[44:45], v[46:47], v[50:51], -v[44:45]
	v_mul_f64_e32 v[46:47], v[46:47], v[52:53]
	ds_load_b128 v[52:55], v231 offset:26112
	v_fma_f64 v[46:47], v[48:49], v[50:51], v[46:47]
	s_wait_dscnt 0x0
	v_mul_f64_e32 v[48:49], v[54:55], v[58:59]
	s_delay_alu instid0(VALU_DEP_1)
	v_fma_f64 v[50:51], v[52:53], v[56:57], -v[48:49]
	v_mul_f64_e32 v[48:49], v[52:53], v[58:59]
	global_load_b128 v[58:61], v[2:3], off offset:848
	v_fma_f64 v[48:49], v[54:55], v[56:57], v[48:49]
	ds_load_b128 v[54:57], v231 offset:33792
	s_wait_loadcnt_dscnt 0x0
	v_mul_f64_e32 v[52:53], v[56:57], v[60:61]
	scratch_store_b128 off, v[58:61], off offset:1132 ; 16-byte Folded Spill
	v_fma_f64 v[52:53], v[54:55], v[58:59], -v[52:53]
	v_mul_f64_e32 v[54:55], v[54:55], v[60:61]
	s_delay_alu instid0(VALU_DEP_2) | instskip(NEXT) | instid1(VALU_DEP_2)
	v_add_f64_e32 v[134:135], v[44:45], v[52:53]
	v_fma_f64 v[54:55], v[56:57], v[58:59], v[54:55]
	ds_load_b128 v[56:59], v231 offset:41472
	s_wait_dscnt 0x0
	v_mul_f64_e32 v[2:3], v[58:59], v[64:65]
	s_delay_alu instid0(VALU_DEP_1) | instskip(SKIP_1) | instid1(VALU_DEP_1)
	v_fma_f64 v[60:61], v[56:57], v[62:63], -v[2:3]
	v_mul_f64_e32 v[2:3], v[56:57], v[64:65]
	v_fma_f64 v[56:57], v[58:59], v[62:63], v[2:3]
	v_mul_u32_u24_e32 v2, 0x8889, v108
	ds_load_b128 v[62:65], v231 offset:12288
	v_lshrrev_b32_e32 v108, 21, v2
	s_delay_alu instid0(VALU_DEP_1) | instskip(NEXT) | instid1(VALU_DEP_1)
	v_mul_lo_u16 v2, v108, 60
	v_sub_nc_u16 v111, v104, v2
	s_delay_alu instid0(VALU_DEP_1) | instskip(NEXT) | instid1(VALU_DEP_1)
	v_mul_lo_u16 v2, 0x50, v111
	v_and_b32_e32 v2, 0xffff, v2
	s_delay_alu instid0(VALU_DEP_1)
	v_add_co_u32 v2, s31, s10, v2
	s_wait_alu 0xf1ff
	v_add_co_ci_u32_e64 v3, null, s11, 0, s31
	s_clause 0x3
	global_load_b128 v[66:69], v[2:3], off offset:800
	global_load_b128 v[70:73], v[2:3], off offset:816
	;; [unrolled: 1-line block ×4, first 2 shown]
	s_wait_loadcnt_dscnt 0x300
	v_mul_f64_e32 v[58:59], v[64:65], v[68:69]
	scratch_store_b128 off, v[66:69], off offset:1168 ; 16-byte Folded Spill
	s_wait_loadcnt 0x2
	scratch_store_b128 off, v[70:73], off offset:1184 ; 16-byte Folded Spill
	s_wait_loadcnt 0x1
	scratch_store_b128 off, v[76:79], off offset:1200 ; 16-byte Folded Spill
	v_fma_f64 v[58:59], v[62:63], v[66:67], -v[58:59]
	v_mul_f64_e32 v[62:63], v[62:63], v[68:69]
	s_delay_alu instid0(VALU_DEP_1) | instskip(SKIP_3) | instid1(VALU_DEP_1)
	v_fma_f64 v[62:63], v[64:65], v[66:67], v[62:63]
	ds_load_b128 v[66:69], v231 offset:19968
	s_wait_dscnt 0x0
	v_mul_f64_e32 v[64:65], v[68:69], v[72:73]
	v_fma_f64 v[64:65], v[66:67], v[70:71], -v[64:65]
	v_mul_f64_e32 v[66:67], v[66:67], v[72:73]
	ds_load_b128 v[72:75], v231 offset:27648
	v_fma_f64 v[66:67], v[68:69], v[70:71], v[66:67]
	s_wait_dscnt 0x0
	v_mul_f64_e32 v[68:69], v[74:75], v[78:79]
	s_delay_alu instid0(VALU_DEP_1)
	v_fma_f64 v[70:71], v[72:73], v[76:77], -v[68:69]
	v_mul_f64_e32 v[68:69], v[72:73], v[78:79]
	global_load_b128 v[78:81], v[2:3], off offset:848
	v_fma_f64 v[68:69], v[74:75], v[76:77], v[68:69]
	ds_load_b128 v[74:77], v231 offset:35328
	s_wait_loadcnt_dscnt 0x0
	v_mul_f64_e32 v[72:73], v[76:77], v[80:81]
	scratch_store_b128 off, v[78:81], off offset:1216 ; 16-byte Folded Spill
	v_fma_f64 v[72:73], v[74:75], v[78:79], -v[72:73]
	v_mul_f64_e32 v[74:75], v[74:75], v[80:81]
	ds_load_b128 v[80:83], v231 offset:43008
	s_wait_dscnt 0x0
	v_mul_f64_e32 v[2:3], v[82:83], v[86:87]
	v_add_f64_e32 v[142:143], v[64:65], v[72:73]
	v_fma_f64 v[74:75], v[76:77], v[78:79], v[74:75]
	s_delay_alu instid0(VALU_DEP_3) | instskip(SKIP_1) | instid1(VALU_DEP_1)
	v_fma_f64 v[78:79], v[80:81], v[84:85], -v[2:3]
	v_mul_f64_e32 v[2:3], v[80:81], v[86:87]
	v_fma_f64 v[76:77], v[82:83], v[84:85], v[2:3]
	v_mul_u32_u24_e32 v2, 0x8889, v199
	s_delay_alu instid0(VALU_DEP_1) | instskip(NEXT) | instid1(VALU_DEP_1)
	v_lshrrev_b32_e32 v112, 21, v2
	v_mul_lo_u16 v2, v112, 60
	s_delay_alu instid0(VALU_DEP_1) | instskip(NEXT) | instid1(VALU_DEP_1)
	v_sub_nc_u16 v113, v199, v2
	v_mul_lo_u16 v2, 0x50, v113
	s_delay_alu instid0(VALU_DEP_1) | instskip(NEXT) | instid1(VALU_DEP_1)
	v_and_b32_e32 v2, 0xffff, v2
	v_add_co_u32 v2, s31, s10, v2
	s_wait_alu 0xf1ff
	v_add_co_ci_u32_e64 v3, null, s11, 0, s31
	s_clause 0x1
	global_load_b128 v[90:93], v[2:3], off offset:816
	global_load_b128 v[118:121], v[2:3], off offset:864
	scratch_store_b128 off, v[84:87], off offset:1232 ; 16-byte Folded Spill
	s_clause 0x2
	global_load_b128 v[86:89], v[2:3], off offset:800
	global_load_b128 v[96:99], v[2:3], off offset:832
	;; [unrolled: 1-line block ×3, first 2 shown]
	ds_load_b128 v[82:85], v231 offset:13824
	s_wait_loadcnt 0x4
	scratch_store_b128 off, v[90:93], off offset:1272 ; 16-byte Folded Spill
	s_wait_loadcnt 0x3
	scratch_store_b128 off, v[118:121], off offset:1320 ; 16-byte Folded Spill
	s_wait_loadcnt_dscnt 0x200
	v_mul_f64_e32 v[80:81], v[84:85], v[88:89]
	scratch_store_b128 off, v[86:89], off offset:1256 ; 16-byte Folded Spill
	s_wait_loadcnt 0x1
	scratch_store_b128 off, v[96:99], off offset:1288 ; 16-byte Folded Spill
	s_wait_loadcnt 0x0
	scratch_store_b128 off, v[114:117], off offset:1304 ; 16-byte Folded Spill
	v_fma_f64 v[80:81], v[82:83], v[86:87], -v[80:81]
	v_mul_f64_e32 v[82:83], v[82:83], v[88:89]
	s_delay_alu instid0(VALU_DEP_1) | instskip(SKIP_3) | instid1(VALU_DEP_1)
	v_fma_f64 v[82:83], v[84:85], v[86:87], v[82:83]
	ds_load_b128 v[86:89], v231 offset:21504
	s_wait_dscnt 0x0
	v_mul_f64_e32 v[84:85], v[88:89], v[92:93]
	v_fma_f64 v[84:85], v[86:87], v[90:91], -v[84:85]
	v_mul_f64_e32 v[86:87], v[86:87], v[92:93]
	ds_load_b128 v[92:95], v231 offset:29184
	v_fma_f64 v[86:87], v[88:89], v[90:91], v[86:87]
	s_wait_dscnt 0x0
	v_mul_f64_e32 v[88:89], v[94:95], v[98:99]
	s_delay_alu instid0(VALU_DEP_1) | instskip(SKIP_1) | instid1(VALU_DEP_1)
	v_fma_f64 v[90:91], v[92:93], v[96:97], -v[88:89]
	v_mul_f64_e32 v[88:89], v[92:93], v[98:99]
	v_fma_f64 v[88:89], v[94:95], v[96:97], v[88:89]
	ds_load_b128 v[94:97], v231 offset:36864
	s_wait_dscnt 0x0
	v_mul_f64_e32 v[92:93], v[96:97], v[116:117]
	s_delay_alu instid0(VALU_DEP_1) | instskip(SKIP_1) | instid1(VALU_DEP_2)
	v_fma_f64 v[92:93], v[94:95], v[114:115], -v[92:93]
	v_mul_f64_e32 v[94:95], v[94:95], v[116:117]
	v_add_f64_e32 v[150:151], v[84:85], v[92:93]
	s_delay_alu instid0(VALU_DEP_2) | instskip(SKIP_3) | instid1(VALU_DEP_1)
	v_fma_f64 v[94:95], v[96:97], v[114:115], v[94:95]
	ds_load_b128 v[114:117], v231 offset:44544
	s_wait_dscnt 0x0
	v_mul_f64_e32 v[2:3], v[116:117], v[120:121]
	v_fma_f64 v[98:99], v[114:115], v[118:119], -v[2:3]
	v_mul_f64_e32 v[2:3], v[114:115], v[120:121]
	s_delay_alu instid0(VALU_DEP_1)
	v_fma_f64 v[96:97], v[116:117], v[118:119], v[2:3]
	v_add_f64_e32 v[2:3], v[4:5], v[12:13]
	ds_load_b128 v[114:117], v231
	s_wait_dscnt 0x0
	v_fma_f64 v[102:103], v[102:103], -0.5, v[116:117]
	v_add_f64_e32 v[116:117], v[116:117], v[6:7]
	v_fma_f64 v[2:3], v[2:3], -0.5, v[114:115]
	v_add_f64_e32 v[114:115], v[114:115], v[4:5]
	s_delay_alu instid0(VALU_DEP_3) | instskip(SKIP_1) | instid1(VALU_DEP_3)
	v_add_f64_e32 v[120:121], v[116:117], v[14:15]
	v_add_f64_e64 v[14:15], v[6:7], -v[14:15]
	v_add_f64_e32 v[118:119], v[114:115], v[12:13]
	v_add_f64_e32 v[114:115], v[0:1], v[10:11]
	v_add_f64_e64 v[12:13], v[4:5], -v[12:13]
	s_delay_alu instid0(VALU_DEP_2) | instskip(SKIP_1) | instid1(VALU_DEP_1)
	v_add_f64_e32 v[122:123], v[114:115], v[20:21]
	v_add_f64_e32 v[114:115], v[100:101], v[8:9]
	;; [unrolled: 1-line block ×3, first 2 shown]
	s_delay_alu instid0(VALU_DEP_3) | instskip(SKIP_1) | instid1(VALU_DEP_3)
	v_add_f64_e32 v[114:115], v[118:119], v[122:123]
	v_add_f64_e64 v[118:119], v[118:119], -v[122:123]
	v_add_f64_e32 v[116:117], v[120:121], v[124:125]
	v_add_f64_e64 v[120:121], v[120:121], -v[124:125]
	ds_load_b128 v[122:125], v231 offset:1536
	s_wait_dscnt 0x0
	v_fma_f64 v[154:155], v[126:127], -0.5, v[122:123]
	v_add_f64_e32 v[126:127], v[26:27], v[34:35]
	v_add_f64_e32 v[122:123], v[122:123], v[24:25]
	s_delay_alu instid0(VALU_DEP_2) | instskip(NEXT) | instid1(VALU_DEP_2)
	v_fma_f64 v[156:157], v[126:127], -0.5, v[124:125]
	v_add_f64_e32 v[126:127], v[122:123], v[32:33]
	v_add_f64_e32 v[122:123], v[16:17], v[30:31]
	;; [unrolled: 1-line block ×3, first 2 shown]
	v_add_f64_e64 v[32:33], v[24:25], -v[32:33]
	s_delay_alu instid0(VALU_DEP_3) | instskip(SKIP_1) | instid1(VALU_DEP_4)
	v_add_f64_e32 v[130:131], v[122:123], v[38:39]
	v_add_f64_e32 v[122:123], v[22:23], v[28:29]
	;; [unrolled: 1-line block ×3, first 2 shown]
	v_add_f64_e64 v[34:35], v[26:27], -v[34:35]
	s_delay_alu instid0(VALU_DEP_3) | instskip(SKIP_2) | instid1(VALU_DEP_3)
	v_add_f64_e32 v[132:133], v[122:123], v[36:37]
	v_add_f64_e32 v[122:123], v[126:127], v[130:131]
	v_add_f64_e64 v[126:127], v[126:127], -v[130:131]
	v_add_f64_e32 v[124:125], v[128:129], v[132:133]
	v_add_f64_e64 v[128:129], v[128:129], -v[132:133]
	ds_load_b128 v[130:133], v231 offset:3072
	s_wait_dscnt 0x0
	v_fma_f64 v[158:159], v[134:135], -0.5, v[130:131]
	v_add_f64_e32 v[134:135], v[46:47], v[54:55]
	v_add_f64_e32 v[130:131], v[130:131], v[44:45]
	s_delay_alu instid0(VALU_DEP_2) | instskip(NEXT) | instid1(VALU_DEP_2)
	v_fma_f64 v[160:161], v[134:135], -0.5, v[132:133]
	v_add_f64_e32 v[134:135], v[130:131], v[52:53]
	v_add_f64_e32 v[130:131], v[40:41], v[50:51]
	;; [unrolled: 1-line block ×3, first 2 shown]
	v_add_f64_e64 v[46:47], v[46:47], -v[54:55]
	s_delay_alu instid0(VALU_DEP_3) | instskip(SKIP_1) | instid1(VALU_DEP_4)
	v_add_f64_e32 v[138:139], v[130:131], v[60:61]
	v_add_f64_e32 v[130:131], v[42:43], v[48:49]
	;; [unrolled: 1-line block ×3, first 2 shown]
	s_delay_alu instid0(VALU_DEP_2) | instskip(NEXT) | instid1(VALU_DEP_4)
	v_add_f64_e32 v[140:141], v[130:131], v[56:57]
	v_add_f64_e32 v[130:131], v[134:135], v[138:139]
	v_add_f64_e64 v[134:135], v[134:135], -v[138:139]
	s_delay_alu instid0(VALU_DEP_3)
	v_add_f64_e32 v[132:133], v[136:137], v[140:141]
	v_add_f64_e64 v[136:137], v[136:137], -v[140:141]
	ds_load_b128 v[138:141], v231 offset:4608
	s_wait_dscnt 0x0
	v_fma_f64 v[162:163], v[142:143], -0.5, v[138:139]
	v_add_f64_e32 v[142:143], v[66:67], v[74:75]
	v_add_f64_e32 v[138:139], v[138:139], v[64:65]
	v_add_f64_e64 v[64:65], v[64:65], -v[72:73]
	s_delay_alu instid0(VALU_DEP_3) | instskip(NEXT) | instid1(VALU_DEP_3)
	v_fma_f64 v[166:167], v[142:143], -0.5, v[140:141]
	v_add_f64_e32 v[142:143], v[138:139], v[72:73]
	v_add_f64_e32 v[138:139], v[58:59], v[70:71]
	;; [unrolled: 1-line block ×3, first 2 shown]
	s_delay_alu instid0(VALU_DEP_2) | instskip(SKIP_1) | instid1(VALU_DEP_3)
	v_add_f64_e32 v[146:147], v[138:139], v[78:79]
	v_add_f64_e32 v[138:139], v[62:63], v[68:69]
	v_add_f64_e32 v[144:145], v[140:141], v[74:75]
	s_delay_alu instid0(VALU_DEP_2) | instskip(NEXT) | instid1(VALU_DEP_4)
	v_add_f64_e32 v[148:149], v[138:139], v[76:77]
	v_add_f64_e32 v[138:139], v[142:143], v[146:147]
	v_add_f64_e64 v[142:143], v[142:143], -v[146:147]
	s_delay_alu instid0(VALU_DEP_3)
	v_add_f64_e32 v[140:141], v[144:145], v[148:149]
	v_add_f64_e64 v[144:145], v[144:145], -v[148:149]
	ds_load_b128 v[146:149], v231 offset:6144
	global_wb scope:SCOPE_SE
	s_wait_storecnt_dscnt 0x0
	s_barrier_signal -1
	s_barrier_wait -1
	global_inv scope:SCOPE_SE
	v_fma_f64 v[168:169], v[150:151], -0.5, v[146:147]
	v_add_f64_e32 v[150:151], v[86:87], v[94:95]
	v_add_f64_e32 v[146:147], v[146:147], v[84:85]
	s_delay_alu instid0(VALU_DEP_2) | instskip(NEXT) | instid1(VALU_DEP_2)
	v_fma_f64 v[170:171], v[150:151], -0.5, v[148:149]
	v_add_f64_e32 v[150:151], v[146:147], v[92:93]
	v_add_f64_e32 v[146:147], v[80:81], v[90:91]
	;; [unrolled: 1-line block ×3, first 2 shown]
	s_delay_alu instid0(VALU_DEP_2) | instskip(SKIP_1) | instid1(VALU_DEP_3)
	v_add_f64_e32 v[172:173], v[146:147], v[98:99]
	v_add_f64_e32 v[146:147], v[82:83], v[88:89]
	;; [unrolled: 1-line block ×3, first 2 shown]
	s_delay_alu instid0(VALU_DEP_2) | instskip(NEXT) | instid1(VALU_DEP_4)
	v_add_f64_e32 v[174:175], v[146:147], v[96:97]
	v_add_f64_e32 v[146:147], v[150:151], v[172:173]
	v_add_f64_e64 v[150:151], v[150:151], -v[172:173]
	s_wait_alu 0xfffd
	v_cndmask_b32_e64 v172, 0, 0x168, vcc_lo
	v_cmp_gt_u16_e64 vcc_lo, 0x48, v220
	s_delay_alu instid0(VALU_DEP_2)
	v_add_lshl_u32 v230, v110, v172, 4
	ds_store_b128 v230, v[114:117]
	ds_store_b128 v230, v[118:121] offset:2880
	v_add_f64_e32 v[114:115], v[10:11], v[20:21]
	v_add_f64_e64 v[20:21], v[10:11], -v[20:21]
	v_add_f64_e32 v[10:11], v[8:9], v[18:19]
	v_add_f64_e64 v[18:19], v[8:9], -v[18:19]
	v_fma_f64 v[116:117], v[12:13], s[12:13], v[102:103]
	v_fma_f64 v[102:103], v[12:13], s[2:3], v[102:103]
	v_add_f64_e32 v[148:149], v[152:153], v[174:175]
	v_add_f64_e64 v[152:153], v[152:153], -v[174:175]
	v_fma_f64 v[0:1], v[114:115], -0.5, v[0:1]
	v_fma_f64 v[114:115], v[14:15], s[2:3], v[2:3]
	v_fma_f64 v[100:101], v[10:11], -0.5, v[100:101]
	v_fma_f64 v[2:3], v[14:15], s[12:13], v[2:3]
	s_delay_alu instid0(VALU_DEP_4) | instskip(SKIP_1) | instid1(VALU_DEP_4)
	v_fma_f64 v[6:7], v[18:19], s[2:3], v[0:1]
	v_fma_f64 v[0:1], v[18:19], s[12:13], v[0:1]
	;; [unrolled: 1-line block ×4, first 2 shown]
	s_delay_alu instid0(VALU_DEP_3) | instskip(NEXT) | instid1(VALU_DEP_2)
	v_mul_f64_e32 v[14:15], -0.5, v[0:1]
	v_mul_f64_e32 v[8:9], s[2:3], v[4:5]
	s_delay_alu instid0(VALU_DEP_2) | instskip(SKIP_1) | instid1(VALU_DEP_3)
	v_fma_f64 v[18:19], v[12:13], s[2:3], v[14:15]
	v_mul_f64_e32 v[12:13], -0.5, v[12:13]
	v_fma_f64 v[8:9], v[6:7], 0.5, v[8:9]
	v_mul_f64_e32 v[6:7], s[12:13], v[6:7]
	s_delay_alu instid0(VALU_DEP_3)
	v_fma_f64 v[0:1], v[0:1], s[12:13], v[12:13]
	v_add_f64_e32 v[12:13], v[2:3], v[18:19]
	v_add_f64_e64 v[18:19], v[2:3], -v[18:19]
	v_add_f64_e64 v[2:3], v[30:31], -v[38:39]
	v_fma_f64 v[10:11], v[4:5], 0.5, v[6:7]
	v_add_f64_e32 v[4:5], v[114:115], v[8:9]
	v_add_f64_e64 v[8:9], v[114:115], -v[8:9]
	v_add_f64_e32 v[14:15], v[102:103], v[0:1]
	v_add_f64_e64 v[20:21], v[102:103], -v[0:1]
	v_add_f64_e32 v[0:1], v[30:31], v[38:39]
	v_add_f64_e32 v[30:31], v[28:29], v[36:37]
	v_add_f64_e64 v[36:37], v[28:29], -v[36:37]
	v_fma_f64 v[28:29], v[34:35], s[2:3], v[154:155]
	v_fma_f64 v[38:39], v[32:33], s[12:13], v[156:157]
	v_add_f64_e32 v[6:7], v[116:117], v[10:11]
	v_add_f64_e64 v[10:11], v[116:117], -v[10:11]
	ds_store_b128 v230, v[4:7] offset:960
	ds_store_b128 v230, v[12:15] offset:1920
	ds_store_b128 v230, v[8:11] offset:3840
	ds_store_b128 v230, v[18:21] offset:4800
	v_fma_f64 v[30:31], v[30:31], -0.5, v[22:23]
	v_fma_f64 v[0:1], v[0:1], -0.5, v[16:17]
	s_delay_alu instid0(VALU_DEP_2) | instskip(NEXT) | instid1(VALU_DEP_2)
	v_fma_f64 v[16:17], v[2:3], s[12:13], v[30:31]
	v_fma_f64 v[22:23], v[36:37], s[2:3], v[0:1]
	;; [unrolled: 1-line block ×5, first 2 shown]
	v_mul_f64_e32 v[24:25], s[2:3], v[16:17]
	s_delay_alu instid0(VALU_DEP_4) | instskip(NEXT) | instid1(VALU_DEP_2)
	v_mul_f64_e32 v[30:31], -0.5, v[0:1]
	v_fma_f64 v[26:27], v[22:23], 0.5, v[24:25]
	v_mul_f64_e32 v[22:23], s[12:13], v[22:23]
	s_delay_alu instid0(VALU_DEP_1) | instskip(NEXT) | instid1(VALU_DEP_3)
	v_fma_f64 v[16:17], v[16:17], 0.5, v[22:23]
	v_add_f64_e32 v[22:23], v[28:29], v[26:27]
	v_add_f64_e64 v[26:27], v[28:29], -v[26:27]
	s_delay_alu instid0(VALU_DEP_3) | instskip(SKIP_4) | instid1(VALU_DEP_2)
	v_add_f64_e32 v[24:25], v[38:39], v[16:17]
	v_add_f64_e64 v[28:29], v[38:39], -v[16:17]
	v_fma_f64 v[16:17], v[34:35], s[12:13], v[154:155]
	v_fma_f64 v[34:35], v[2:3], s[2:3], v[30:31]
	v_mul_f64_e32 v[2:3], -0.5, v[2:3]
	v_add_f64_e32 v[30:31], v[16:17], v[34:35]
	s_delay_alu instid0(VALU_DEP_2)
	v_fma_f64 v[0:1], v[0:1], s[12:13], v[2:3]
	v_add_f64_e64 v[34:35], v[16:17], -v[34:35]
	v_add_f64_e32 v[16:17], v[48:49], v[56:57]
	v_add_f64_e64 v[2:3], v[50:51], -v[60:61]
	v_add_f64_e64 v[48:49], v[48:49], -v[56:57]
	v_add_f64_e32 v[32:33], v[36:37], v[0:1]
	v_add_f64_e64 v[36:37], v[36:37], -v[0:1]
	v_add_f64_e32 v[0:1], v[50:51], v[60:61]
	v_fma_f64 v[16:17], v[16:17], -0.5, v[42:43]
	v_add_f64_e64 v[50:51], v[44:45], -v[52:53]
	v_fma_f64 v[52:53], v[46:47], s[2:3], v[158:159]
	s_delay_alu instid0(VALU_DEP_4) | instskip(NEXT) | instid1(VALU_DEP_4)
	v_fma_f64 v[0:1], v[0:1], -0.5, v[40:41]
	v_fma_f64 v[38:39], v[2:3], s[12:13], v[16:17]
	v_fma_f64 v[2:3], v[2:3], s[2:3], v[16:17]
	;; [unrolled: 1-line block ×3, first 2 shown]
	s_delay_alu instid0(VALU_DEP_4) | instskip(NEXT) | instid1(VALU_DEP_4)
	v_fma_f64 v[40:41], v[48:49], s[2:3], v[0:1]
	v_mul_f64_e32 v[42:43], s[2:3], v[38:39]
	v_fma_f64 v[0:1], v[48:49], s[12:13], v[0:1]
	s_delay_alu instid0(VALU_DEP_2) | instskip(SKIP_1) | instid1(VALU_DEP_3)
	v_fma_f64 v[42:43], v[40:41], 0.5, v[42:43]
	v_mul_f64_e32 v[40:41], s[12:13], v[40:41]
	v_mul_f64_e32 v[16:17], -0.5, v[0:1]
	s_delay_alu instid0(VALU_DEP_2) | instskip(NEXT) | instid1(VALU_DEP_2)
	v_fma_f64 v[44:45], v[38:39], 0.5, v[40:41]
	v_fma_f64 v[16:17], v[2:3], s[2:3], v[16:17]
	v_mul_f64_e32 v[2:3], -0.5, v[2:3]
	v_add_f64_e32 v[38:39], v[52:53], v[42:43]
	v_add_f64_e64 v[42:43], v[52:53], -v[42:43]
	v_fma_f64 v[52:53], v[46:47], s[12:13], v[158:159]
	v_add_f64_e32 v[40:41], v[54:55], v[44:45]
	v_add_f64_e64 v[44:45], v[54:55], -v[44:45]
	v_fma_f64 v[54:55], v[50:51], s[2:3], v[160:161]
	v_fma_f64 v[0:1], v[0:1], s[12:13], v[2:3]
	v_add_f64_e64 v[2:3], v[70:71], -v[78:79]
	v_add_f64_e32 v[46:47], v[52:53], v[16:17]
	v_add_f64_e64 v[50:51], v[52:53], -v[16:17]
	v_add_f64_e32 v[16:17], v[68:69], v[76:77]
	v_add_f64_e32 v[48:49], v[54:55], v[0:1]
	v_add_f64_e64 v[52:53], v[54:55], -v[0:1]
	v_add_f64_e32 v[0:1], v[70:71], v[78:79]
	v_fma_f64 v[70:71], v[64:65], s[12:13], v[166:167]
	v_fma_f64 v[16:17], v[16:17], -0.5, v[62:63]
	v_add_f64_e64 v[62:63], v[66:67], -v[74:75]
	v_add_f64_e64 v[66:67], v[68:69], -v[76:77]
	;; [unrolled: 1-line block ×3, first 2 shown]
	v_fma_f64 v[0:1], v[0:1], -0.5, v[58:59]
	v_fma_f64 v[54:55], v[2:3], s[12:13], v[16:17]
	v_fma_f64 v[2:3], v[2:3], s[2:3], v[16:17]
	;; [unrolled: 1-line block ×3, first 2 shown]
	s_delay_alu instid0(VALU_DEP_4) | instskip(SKIP_3) | instid1(VALU_DEP_3)
	v_fma_f64 v[56:57], v[66:67], s[2:3], v[0:1]
	v_fma_f64 v[0:1], v[66:67], s[12:13], v[0:1]
	v_mul_f64_e32 v[58:59], s[2:3], v[54:55]
	v_fma_f64 v[66:67], v[62:63], s[12:13], v[162:163]
	v_mul_f64_e32 v[16:17], -0.5, v[0:1]
	s_delay_alu instid0(VALU_DEP_3) | instskip(SKIP_1) | instid1(VALU_DEP_3)
	v_fma_f64 v[58:59], v[56:57], 0.5, v[58:59]
	v_mul_f64_e32 v[56:57], s[12:13], v[56:57]
	v_fma_f64 v[16:17], v[2:3], s[2:3], v[16:17]
	v_mul_f64_e32 v[2:3], -0.5, v[2:3]
	s_delay_alu instid0(VALU_DEP_3)
	v_fma_f64 v[60:61], v[54:55], 0.5, v[56:57]
	v_add_f64_e32 v[54:55], v[68:69], v[58:59]
	v_add_f64_e64 v[58:59], v[68:69], -v[58:59]
	v_fma_f64 v[68:69], v[64:65], s[2:3], v[166:167]
	v_add_f64_e32 v[62:63], v[66:67], v[16:17]
	v_fma_f64 v[0:1], v[0:1], s[12:13], v[2:3]
	v_add_f64_e64 v[66:67], v[66:67], -v[16:17]
	v_add_f64_e32 v[16:17], v[88:89], v[96:97]
	v_add_f64_e64 v[2:3], v[90:91], -v[98:99]
	v_add_f64_e32 v[56:57], v[70:71], v[60:61]
	;; [unrolled: 2-line block ×4, first 2 shown]
	v_fma_f64 v[16:17], v[16:17], -0.5, v[82:83]
	v_add_f64_e64 v[82:83], v[84:85], -v[92:93]
	v_add_f64_e64 v[84:85], v[88:89], -v[96:97]
	s_delay_alu instid0(VALU_DEP_4) | instskip(NEXT) | instid1(VALU_DEP_4)
	v_fma_f64 v[0:1], v[0:1], -0.5, v[80:81]
	v_fma_f64 v[70:71], v[2:3], s[12:13], v[16:17]
	v_fma_f64 v[2:3], v[2:3], s[2:3], v[16:17]
	;; [unrolled: 1-line block ×5, first 2 shown]
	v_mul_f64_e32 v[74:75], s[2:3], v[70:71]
	v_fma_f64 v[0:1], v[84:85], s[12:13], v[0:1]
	v_fma_f64 v[84:85], v[78:79], s[12:13], v[168:169]
	s_delay_alu instid0(VALU_DEP_3) | instskip(SKIP_1) | instid1(VALU_DEP_4)
	v_fma_f64 v[74:75], v[72:73], 0.5, v[74:75]
	v_mul_f64_e32 v[72:73], s[12:13], v[72:73]
	v_mul_f64_e32 v[16:17], -0.5, v[0:1]
	s_delay_alu instid0(VALU_DEP_2) | instskip(NEXT) | instid1(VALU_DEP_2)
	v_fma_f64 v[76:77], v[70:71], 0.5, v[72:73]
	v_fma_f64 v[16:17], v[2:3], s[2:3], v[16:17]
	v_mul_f64_e32 v[2:3], -0.5, v[2:3]
	v_add_f64_e32 v[70:71], v[80:81], v[74:75]
	v_add_f64_e64 v[74:75], v[80:81], -v[74:75]
	v_add_f64_e32 v[72:73], v[86:87], v[76:77]
	v_add_f64_e64 v[76:77], v[86:87], -v[76:77]
	v_fma_f64 v[86:87], v[82:83], s[2:3], v[170:171]
	v_fma_f64 v[0:1], v[0:1], s[12:13], v[2:3]
	v_add_f64_e32 v[78:79], v[84:85], v[16:17]
	v_add_f64_e64 v[82:83], v[84:85], -v[16:17]
	s_delay_alu instid0(VALU_DEP_3) | instskip(SKIP_2) | instid1(VALU_DEP_1)
	v_add_f64_e32 v[80:81], v[86:87], v[0:1]
	v_add_f64_e64 v[84:85], v[86:87], -v[0:1]
	v_and_b32_e32 v0, 0xffff, v109
	v_mul_u32_u24_e32 v0, 0x168, v0
	s_delay_alu instid0(VALU_DEP_1)
	v_add_lshl_u32 v184, v0, v106, 4
	v_mad_u16 v0, 0x168, v107, v105
	ds_store_b128 v184, v[122:125]
	ds_store_b128 v184, v[22:25] offset:960
	ds_store_b128 v184, v[30:33] offset:1920
	;; [unrolled: 1-line block ×5, first 2 shown]
	v_and_b32_e32 v0, 0xffff, v0
	s_delay_alu instid0(VALU_DEP_1)
	v_lshlrev_b32_e32 v0, 4, v0
	scratch_store_b32 off, v0, off offset:1388 ; 4-byte Folded Spill
	ds_store_b128 v0, v[130:133]
	ds_store_b128 v0, v[38:41] offset:960
	ds_store_b128 v0, v[46:49] offset:1920
	;; [unrolled: 1-line block ×5, first 2 shown]
	v_mad_u16 v0, 0x168, v108, v111
	s_delay_alu instid0(VALU_DEP_1) | instskip(NEXT) | instid1(VALU_DEP_1)
	v_and_b32_e32 v0, 0xffff, v0
	v_lshlrev_b32_e32 v0, 4, v0
	scratch_store_b32 off, v0, off offset:1352 ; 4-byte Folded Spill
	ds_store_b128 v0, v[138:141]
	ds_store_b128 v0, v[54:57] offset:960
	ds_store_b128 v0, v[62:65] offset:1920
	;; [unrolled: 1-line block ×5, first 2 shown]
	v_mad_u16 v0, 0x168, v112, v113
	s_delay_alu instid0(VALU_DEP_1) | instskip(NEXT) | instid1(VALU_DEP_1)
	v_and_b32_e32 v0, 0xffff, v0
	v_lshlrev_b32_e32 v229, 4, v0
	ds_store_b128 v229, v[146:149]
	ds_store_b128 v229, v[70:73] offset:960
	ds_store_b128 v229, v[78:81] offset:1920
	;; [unrolled: 1-line block ×5, first 2 shown]
	global_wb scope:SCOPE_SE
	s_wait_storecnt_dscnt 0x0
	s_barrier_signal -1
	s_barrier_wait -1
	global_inv scope:SCOPE_SE
	global_load_b128 v[13:16], v231, s[10:11] offset:5600
	ds_load_b128 v[4:7], v231 offset:23040
	ds_load_b128 v[124:127], v231 offset:21504
	;; [unrolled: 1-line block ×14, first 2 shown]
	scratch_store_b32 off, v198, off offset:836 ; 4-byte Folded Spill
	s_wait_loadcnt_dscnt 0xd
	v_mul_f64_e32 v[0:1], v[6:7], v[15:16]
	scratch_store_b128 off, v[13:16], off offset:1336 ; 16-byte Folded Spill
	v_fma_f64 v[2:3], v[4:5], v[13:14], -v[0:1]
	v_mul_f64_e32 v[0:1], v[4:5], v[15:16]
	s_delay_alu instid0(VALU_DEP_1)
	v_fma_f64 v[11:12], v[6:7], v[13:14], v[0:1]
	global_load_b128 v[13:16], v231, s[10:11] offset:7136
	ds_load_b128 v[4:7], v231 offset:24576
	s_wait_loadcnt_dscnt 0x0
	v_mul_f64_e32 v[0:1], v[6:7], v[15:16]
	scratch_store_b128 off, v[13:16], off offset:1356 ; 16-byte Folded Spill
	v_fma_f64 v[17:18], v[4:5], v[13:14], -v[0:1]
	v_mul_f64_e32 v[0:1], v[4:5], v[15:16]
	s_delay_alu instid0(VALU_DEP_1)
	v_fma_f64 v[19:20], v[6:7], v[13:14], v[0:1]
	global_load_b128 v[13:16], v231, s[10:11] offset:8672
	ds_load_b128 v[4:7], v231 offset:26112
	s_wait_loadcnt_dscnt 0x0
	v_mul_f64_e32 v[0:1], v[6:7], v[15:16]
	scratch_store_b128 off, v[13:16], off offset:1372 ; 16-byte Folded Spill
	v_fma_f64 v[25:26], v[4:5], v[13:14], -v[0:1]
	v_mul_f64_e32 v[0:1], v[4:5], v[15:16]
	s_delay_alu instid0(VALU_DEP_2) | instskip(NEXT) | instid1(VALU_DEP_2)
	v_add_f64_e64 v[25:26], v[21:22], -v[25:26]
	v_fma_f64 v[27:28], v[6:7], v[13:14], v[0:1]
	v_add_co_u32 v0, s31, 0xffffffb8, v198
	v_add_co_ci_u32_e64 v1, null, 0, 0, s30
	s_wait_alu 0xf1ff
	v_add_co_ci_u32_e64 v4, null, 0, -1, s31
	s_wait_alu 0xfffd
	v_cndmask_b32_e32 v0, v0, v104, vcc_lo
	s_delay_alu instid0(VALU_DEP_2) | instskip(NEXT) | instid1(VALU_DEP_1)
	v_cndmask_b32_e32 v1, v4, v1, vcc_lo
	v_lshlrev_b64_e32 v[4:5], 4, v[0:1]
	v_add_co_u32 v1, s30, 0x2a0, v198
	s_delay_alu instid0(VALU_DEP_2) | instskip(SKIP_1) | instid1(VALU_DEP_3)
	v_add_co_u32 v4, vcc_lo, s10, v4
	s_wait_alu 0xfffd
	v_add_co_ci_u32_e32 v5, vcc_lo, s11, v5, vcc_lo
	v_cmp_lt_u16_e64 vcc_lo, 0x47, v220
	global_load_b128 v[13:16], v[4:5], off offset:5600
	ds_load_b128 v[4:7], v231 offset:27648
	v_fma_f64 v[21:22], v[21:22], 2.0, -v[25:26]
	v_add_f64_e64 v[27:28], v[23:24], -v[27:28]
	s_delay_alu instid0(VALU_DEP_1)
	v_fma_f64 v[23:24], v[23:24], 2.0, -v[27:28]
	s_wait_loadcnt_dscnt 0x0
	v_mul_f64_e32 v[8:9], v[6:7], v[15:16]
	scratch_store_b128 off, v[13:16], off offset:1392 ; 16-byte Folded Spill
	v_fma_f64 v[33:34], v[4:5], v[13:14], -v[8:9]
	v_mul_f64_e32 v[4:5], v[4:5], v[15:16]
	s_delay_alu instid0(VALU_DEP_2) | instskip(NEXT) | instid1(VALU_DEP_2)
	v_add_f64_e64 v[33:34], v[29:30], -v[33:34]
	v_fma_f64 v[35:36], v[6:7], v[13:14], v[4:5]
	global_load_b128 v[13:16], v231, s[10:11] offset:5984
	ds_load_b128 v[4:7], v231 offset:29184
	v_fma_f64 v[29:30], v[29:30], 2.0, -v[33:34]
	v_add_f64_e64 v[35:36], v[31:32], -v[35:36]
	s_delay_alu instid0(VALU_DEP_1)
	v_fma_f64 v[31:32], v[31:32], 2.0, -v[35:36]
	s_wait_loadcnt_dscnt 0x0
	v_mul_f64_e32 v[8:9], v[6:7], v[15:16]
	scratch_store_b128 off, v[13:16], off offset:1408 ; 16-byte Folded Spill
	v_fma_f64 v[41:42], v[4:5], v[13:14], -v[8:9]
	v_mul_f64_e32 v[4:5], v[4:5], v[15:16]
	s_delay_alu instid0(VALU_DEP_2) | instskip(NEXT) | instid1(VALU_DEP_2)
	v_add_f64_e64 v[41:42], v[37:38], -v[41:42]
	v_fma_f64 v[43:44], v[6:7], v[13:14], v[4:5]
	global_load_b128 v[13:16], v231, s[10:11] offset:7520
	;; [unrolled: 14-line block ×3, first 2 shown]
	ds_load_b128 v[4:7], v231 offset:32256
	v_fma_f64 v[45:46], v[45:46], 2.0, -v[49:50]
	v_add_f64_e64 v[51:52], v[47:48], -v[51:52]
	s_delay_alu instid0(VALU_DEP_1)
	v_fma_f64 v[47:48], v[47:48], 2.0, -v[51:52]
	s_wait_loadcnt_dscnt 0x0
	v_mul_f64_e32 v[8:9], v[6:7], v[15:16]
	scratch_store_b128 off, v[13:16], off offset:1440 ; 16-byte Folded Spill
	v_fma_f64 v[57:58], v[4:5], v[13:14], -v[8:9]
	v_mul_f64_e32 v[4:5], v[4:5], v[15:16]
	s_delay_alu instid0(VALU_DEP_2) | instskip(NEXT) | instid1(VALU_DEP_2)
	v_add_f64_e64 v[57:58], v[53:54], -v[57:58]
	v_fma_f64 v[59:60], v[6:7], v[13:14], v[4:5]
	v_and_b32_e32 v4, 0xffff, v1
	s_delay_alu instid0(VALU_DEP_1) | instskip(NEXT) | instid1(VALU_DEP_1)
	v_mul_u32_u24_e32 v4, 0x2d83, v4
	v_lshrrev_b32_e32 v4, 22, v4
	s_delay_alu instid0(VALU_DEP_1) | instskip(NEXT) | instid1(VALU_DEP_1)
	v_mul_lo_u16 v5, 0x168, v4
	v_sub_nc_u16 v91, v1, v5
	s_delay_alu instid0(VALU_DEP_1) | instskip(NEXT) | instid1(VALU_DEP_1)
	v_and_b32_e32 v5, 0xffff, v91
	v_lshlrev_b32_e32 v5, 4, v5
	global_load_b128 v[13:16], v5, s[10:11] offset:5600
	ds_load_b128 v[5:8], v231 offset:33792
	v_add_f64_e64 v[59:60], v[55:56], -v[59:60]
	v_fma_f64 v[53:54], v[53:54], 2.0, -v[57:58]
	s_delay_alu instid0(VALU_DEP_2)
	v_fma_f64 v[55:56], v[55:56], 2.0, -v[59:60]
	s_wait_loadcnt_dscnt 0x0
	v_mul_f64_e32 v[9:10], v[7:8], v[15:16]
	scratch_store_b128 off, v[13:16], off offset:1456 ; 16-byte Folded Spill
	v_fma_f64 v[65:66], v[5:6], v[13:14], -v[9:10]
	v_mul_f64_e32 v[5:6], v[5:6], v[15:16]
	s_delay_alu instid0(VALU_DEP_2) | instskip(NEXT) | instid1(VALU_DEP_2)
	v_add_f64_e64 v[65:66], v[61:62], -v[65:66]
	v_fma_f64 v[67:68], v[7:8], v[13:14], v[5:6]
	scratch_load_b32 v6, off, off           ; 4-byte Folded Reload
	v_fma_f64 v[61:62], v[61:62], 2.0, -v[65:66]
	v_add_f64_e64 v[67:68], v[63:64], -v[67:68]
	s_delay_alu instid0(VALU_DEP_1) | instskip(SKIP_2) | instid1(VALU_DEP_1)
	v_fma_f64 v[63:64], v[63:64], 2.0, -v[67:68]
	s_wait_loadcnt 0x0
	v_mul_u32_u24_e32 v5, 0x2d83, v6
	v_lshrrev_b32_e32 v5, 22, v5
	s_delay_alu instid0(VALU_DEP_1) | instskip(NEXT) | instid1(VALU_DEP_1)
	v_mul_lo_u16 v5, 0x168, v5
	v_sub_nc_u16 v5, v6, v5
	s_delay_alu instid0(VALU_DEP_1) | instskip(NEXT) | instid1(VALU_DEP_1)
	v_and_b32_e32 v5, 0xffff, v5
	v_lshlrev_b32_e32 v134, 4, v5
	ds_load_b128 v[5:8], v231 offset:35328
	global_load_b128 v[13:16], v134, s[10:11] offset:5600
	s_wait_loadcnt_dscnt 0x0
	v_mul_f64_e32 v[9:10], v[7:8], v[15:16]
	scratch_store_b128 off, v[13:16], off offset:1472 ; 16-byte Folded Spill
	v_fma_f64 v[73:74], v[5:6], v[13:14], -v[9:10]
	v_mul_f64_e32 v[5:6], v[5:6], v[15:16]
	s_delay_alu instid0(VALU_DEP_2) | instskip(NEXT) | instid1(VALU_DEP_2)
	v_add_f64_e64 v[73:74], v[69:70], -v[73:74]
	v_fma_f64 v[75:76], v[7:8], v[13:14], v[5:6]
	v_add_nc_u32_e32 v5, 0x360, v198
	s_delay_alu instid0(VALU_DEP_1) | instskip(NEXT) | instid1(VALU_DEP_1)
	v_and_b32_e32 v6, 0xffff, v5
	v_mul_u32_u24_e32 v6, 0x2d83, v6
	s_delay_alu instid0(VALU_DEP_1) | instskip(NEXT) | instid1(VALU_DEP_1)
	v_lshrrev_b32_e32 v6, 22, v6
	v_mul_lo_u16 v6, 0x168, v6
	s_delay_alu instid0(VALU_DEP_1) | instskip(NEXT) | instid1(VALU_DEP_1)
	v_sub_nc_u16 v5, v5, v6
	v_and_b32_e32 v5, 0xffff, v5
	s_delay_alu instid0(VALU_DEP_1)
	v_lshlrev_b32_e32 v135, 4, v5
	ds_load_b128 v[5:8], v231 offset:36864
	v_add_f64_e64 v[75:76], v[71:72], -v[75:76]
	v_fma_f64 v[69:70], v[69:70], 2.0, -v[73:74]
	global_load_b128 v[13:16], v135, s[10:11] offset:5600
	v_fma_f64 v[71:72], v[71:72], 2.0, -v[75:76]
	s_wait_loadcnt_dscnt 0x0
	v_mul_f64_e32 v[9:10], v[7:8], v[15:16]
	scratch_store_b128 off, v[13:16], off offset:1488 ; 16-byte Folded Spill
	v_fma_f64 v[81:82], v[5:6], v[13:14], -v[9:10]
	v_mul_f64_e32 v[5:6], v[5:6], v[15:16]
	s_delay_alu instid0(VALU_DEP_2) | instskip(NEXT) | instid1(VALU_DEP_2)
	v_add_f64_e64 v[81:82], v[77:78], -v[81:82]
	v_fma_f64 v[83:84], v[7:8], v[13:14], v[5:6]
	v_add_nc_u32_e32 v5, 0x3c0, v198
	s_delay_alu instid0(VALU_DEP_1) | instskip(NEXT) | instid1(VALU_DEP_1)
	v_and_b32_e32 v6, 0xffff, v5
	v_mul_u32_u24_e32 v6, 0x2d83, v6
	s_delay_alu instid0(VALU_DEP_1) | instskip(NEXT) | instid1(VALU_DEP_1)
	v_lshrrev_b32_e32 v6, 22, v6
	v_mul_lo_u16 v6, 0x168, v6
	s_delay_alu instid0(VALU_DEP_1) | instskip(NEXT) | instid1(VALU_DEP_1)
	v_sub_nc_u16 v5, v5, v6
	v_and_b32_e32 v5, 0xffff, v5
	s_delay_alu instid0(VALU_DEP_1)
	v_lshlrev_b32_e32 v136, 4, v5
	ds_load_b128 v[5:8], v231 offset:38400
	v_add_f64_e64 v[83:84], v[79:80], -v[83:84]
	v_fma_f64 v[77:78], v[77:78], 2.0, -v[81:82]
	global_load_b128 v[13:16], v136, s[10:11] offset:5600
	v_fma_f64 v[79:80], v[79:80], 2.0, -v[83:84]
	s_wait_loadcnt_dscnt 0x0
	v_mul_f64_e32 v[9:10], v[7:8], v[15:16]
	scratch_store_b128 off, v[13:16], off offset:1504 ; 16-byte Folded Spill
	v_fma_f64 v[89:90], v[5:6], v[13:14], -v[9:10]
	v_mul_f64_e32 v[5:6], v[5:6], v[15:16]
	s_delay_alu instid0(VALU_DEP_2) | instskip(NEXT) | instid1(VALU_DEP_2)
	v_add_f64_e64 v[92:93], v[85:86], -v[89:90]
	v_fma_f64 v[94:95], v[7:8], v[13:14], v[5:6]
	v_add_co_u32 v5, null, 0x420, v198
	s_delay_alu instid0(VALU_DEP_1) | instskip(NEXT) | instid1(VALU_DEP_1)
	v_and_b32_e32 v6, 0xffff, v5
	v_mul_u32_u24_e32 v6, 0x2d83, v6
	s_delay_alu instid0(VALU_DEP_1) | instskip(NEXT) | instid1(VALU_DEP_1)
	v_lshrrev_b32_e32 v132, 22, v6
	v_mul_lo_u16 v6, 0x168, v132
	s_delay_alu instid0(VALU_DEP_1) | instskip(NEXT) | instid1(VALU_DEP_1)
	v_sub_nc_u16 v133, v5, v6
	v_and_b32_e32 v5, 0xffff, v133
	s_delay_alu instid0(VALU_DEP_1)
	v_lshlrev_b32_e32 v5, 4, v5
	v_fma_f64 v[85:86], v[85:86], 2.0, -v[92:93]
	v_add_f64_e64 v[94:95], v[87:88], -v[94:95]
	global_load_b128 v[13:16], v5, s[10:11] offset:5600
	ds_load_b128 v[5:8], v231 offset:39936
	v_fma_f64 v[87:88], v[87:88], 2.0, -v[94:95]
	s_wait_loadcnt_dscnt 0x0
	v_mul_f64_e32 v[9:10], v[7:8], v[15:16]
	scratch_store_b128 off, v[13:16], off offset:1520 ; 16-byte Folded Spill
	v_fma_f64 v[100:101], v[5:6], v[13:14], -v[9:10]
	v_mul_f64_e32 v[5:6], v[5:6], v[15:16]
	s_delay_alu instid0(VALU_DEP_2) | instskip(NEXT) | instid1(VALU_DEP_2)
	v_add_f64_e64 v[104:105], v[96:97], -v[100:101]
	v_fma_f64 v[102:103], v[7:8], v[13:14], v[5:6]
	scratch_load_b32 v6, off, off offset:4  ; 4-byte Folded Reload
	v_fma_f64 v[96:97], v[96:97], 2.0, -v[104:105]
	v_add_f64_e64 v[106:107], v[98:99], -v[102:103]
	s_delay_alu instid0(VALU_DEP_1) | instskip(SKIP_2) | instid1(VALU_DEP_1)
	v_fma_f64 v[98:99], v[98:99], 2.0, -v[106:107]
	s_wait_loadcnt 0x0
	v_mul_u32_u24_e32 v5, 0x2d83, v6
	v_lshrrev_b32_e32 v5, 22, v5
	s_delay_alu instid0(VALU_DEP_1) | instskip(NEXT) | instid1(VALU_DEP_1)
	v_mul_lo_u16 v5, 0x168, v5
	v_sub_nc_u16 v5, v6, v5
	s_delay_alu instid0(VALU_DEP_1) | instskip(NEXT) | instid1(VALU_DEP_1)
	v_and_b32_e32 v5, 0xffff, v5
	v_lshlrev_b32_e32 v137, 4, v5
	ds_load_b128 v[5:8], v231 offset:41472
	global_load_b128 v[13:16], v137, s[10:11] offset:5600
	s_wait_loadcnt_dscnt 0x0
	v_mul_f64_e32 v[9:10], v[7:8], v[15:16]
	scratch_store_b128 off, v[13:16], off offset:1536 ; 16-byte Folded Spill
	v_fma_f64 v[112:113], v[5:6], v[13:14], -v[9:10]
	v_mul_f64_e32 v[5:6], v[5:6], v[15:16]
	s_delay_alu instid0(VALU_DEP_2) | instskip(NEXT) | instid1(VALU_DEP_2)
	v_add_f64_e64 v[112:113], v[108:109], -v[112:113]
	v_fma_f64 v[114:115], v[7:8], v[13:14], v[5:6]
	v_add_nc_u32_e32 v5, 0x4e0, v198
	s_delay_alu instid0(VALU_DEP_1) | instskip(NEXT) | instid1(VALU_DEP_1)
	v_and_b32_e32 v6, 0xffff, v5
	v_mul_u32_u24_e32 v6, 0x2d83, v6
	s_delay_alu instid0(VALU_DEP_1) | instskip(NEXT) | instid1(VALU_DEP_1)
	v_lshrrev_b32_e32 v6, 22, v6
	v_mul_lo_u16 v6, 0x168, v6
	s_delay_alu instid0(VALU_DEP_1) | instskip(NEXT) | instid1(VALU_DEP_1)
	v_sub_nc_u16 v5, v5, v6
	v_and_b32_e32 v5, 0xffff, v5
	s_delay_alu instid0(VALU_DEP_1)
	v_lshlrev_b32_e32 v138, 4, v5
	ds_load_b128 v[5:8], v231 offset:43008
	v_add_f64_e64 v[114:115], v[110:111], -v[114:115]
	v_fma_f64 v[108:109], v[108:109], 2.0, -v[112:113]
	global_load_b128 v[13:16], v138, s[10:11] offset:5600
	v_fma_f64 v[110:111], v[110:111], 2.0, -v[114:115]
	s_wait_loadcnt_dscnt 0x0
	v_mul_f64_e32 v[9:10], v[7:8], v[15:16]
	scratch_store_b128 off, v[13:16], off offset:1564 ; 16-byte Folded Spill
	v_fma_f64 v[120:121], v[5:6], v[13:14], -v[9:10]
	v_mul_f64_e32 v[5:6], v[5:6], v[15:16]
	s_delay_alu instid0(VALU_DEP_2) | instskip(NEXT) | instid1(VALU_DEP_2)
	v_add_f64_e64 v[120:121], v[116:117], -v[120:121]
	v_fma_f64 v[122:123], v[7:8], v[13:14], v[5:6]
	v_add_nc_u32_e32 v5, 0x540, v198
	s_delay_alu instid0(VALU_DEP_1) | instskip(NEXT) | instid1(VALU_DEP_1)
	v_and_b32_e32 v6, 0xffff, v5
	v_mul_u32_u24_e32 v6, 0x2d83, v6
	s_delay_alu instid0(VALU_DEP_1) | instskip(NEXT) | instid1(VALU_DEP_1)
	v_lshrrev_b32_e32 v6, 22, v6
	v_mul_lo_u16 v6, 0x168, v6
	s_delay_alu instid0(VALU_DEP_1) | instskip(NEXT) | instid1(VALU_DEP_1)
	v_sub_nc_u16 v5, v5, v6
	v_and_b32_e32 v5, 0xffff, v5
	s_delay_alu instid0(VALU_DEP_1)
	v_lshlrev_b32_e32 v139, 4, v5
	ds_load_b128 v[5:8], v231 offset:44544
	v_add_f64_e64 v[122:123], v[118:119], -v[122:123]
	v_fma_f64 v[116:117], v[116:117], 2.0, -v[120:121]
	global_load_b128 v[13:16], v139, s[10:11] offset:5600
	v_fma_f64 v[118:119], v[118:119], 2.0, -v[122:123]
	s_wait_loadcnt_dscnt 0x0
	v_mul_f64_e32 v[9:10], v[7:8], v[15:16]
	scratch_store_b128 off, v[13:16], off offset:1600 ; 16-byte Folded Spill
	v_fma_f64 v[128:129], v[5:6], v[13:14], -v[9:10]
	v_mul_f64_e32 v[5:6], v[5:6], v[15:16]
	s_delay_alu instid0(VALU_DEP_2) | instskip(NEXT) | instid1(VALU_DEP_2)
	v_add_f64_e64 v[128:129], v[124:125], -v[128:129]
	v_fma_f64 v[130:131], v[7:8], v[13:14], v[5:6]
	ds_load_b128 v[5:8], v231
	ds_load_b128 v[13:16], v231 offset:1536
	global_wb scope:SCOPE_SE
	s_wait_storecnt_dscnt 0x0
	s_barrier_signal -1
	s_barrier_wait -1
	global_inv scope:SCOPE_SE
	v_add_f64_e64 v[9:10], v[5:6], -v[2:3]
	v_add_f64_e64 v[11:12], v[7:8], -v[11:12]
	;; [unrolled: 1-line block ×4, first 2 shown]
	s_wait_alu 0xfffd
	v_cndmask_b32_e64 v2, 0, 0x2d0, vcc_lo
	v_cmp_gt_u16_e64 vcc_lo, 48, v220
	s_delay_alu instid0(VALU_DEP_2)
	v_add_lshl_u32 v0, v0, v2, 4
	v_fma_f64 v[124:125], v[124:125], 2.0, -v[128:129]
	v_add_f64_e64 v[130:131], v[126:127], -v[130:131]
	v_fma_f64 v[5:6], v[5:6], 2.0, -v[9:10]
	v_fma_f64 v[7:8], v[7:8], 2.0, -v[11:12]
	;; [unrolled: 1-line block ×4, first 2 shown]
	ds_store_b128 v231, v[9:12] offset:5760
	ds_store_b128 v231, v[17:20] offset:7296
	ds_store_b128 v231, v[25:28] offset:8832
	ds_store_b128 v231, v[5:8]
	ds_store_b128 v231, v[13:16] offset:1536
	ds_store_b128 v231, v[21:24] offset:3072
	v_fma_f64 v[126:127], v[126:127], 2.0, -v[130:131]
	scratch_store_b32 off, v0, off offset:1616 ; 4-byte Folded Spill
	ds_store_b128 v0, v[29:32]
	ds_store_b128 v0, v[33:36] offset:5760
	ds_store_b128 v231, v[37:40] offset:11904
	;; [unrolled: 1-line block ×7, first 2 shown]
	v_mad_u16 v0, 0x2d0, v4, v91
	s_delay_alu instid0(VALU_DEP_1) | instskip(NEXT) | instid1(VALU_DEP_1)
	v_and_b32_e32 v0, 0xffff, v0
	v_lshlrev_b32_e32 v0, 4, v0
	scratch_store_b32 off, v0, off offset:1596 ; 4-byte Folded Spill
	ds_store_b128 v0, v[61:64]
	ds_store_b128 v0, v[65:68] offset:5760
	v_mad_u16 v0, 0x2d0, v132, v133
	scratch_store_b32 off, v134, off offset:1592 ; 4-byte Folded Spill
	ds_store_b128 v134, v[69:72] offset:23040
	ds_store_b128 v134, v[73:76] offset:28800
	scratch_store_b32 off, v135, off offset:1588 ; 4-byte Folded Spill
	ds_store_b128 v135, v[77:80] offset:23040
	ds_store_b128 v135, v[81:84] offset:28800
	v_and_b32_e32 v0, 0xffff, v0
	scratch_store_b32 off, v136, off offset:1584 ; 4-byte Folded Spill
	ds_store_b128 v136, v[85:88] offset:23040
	ds_store_b128 v136, v[92:95] offset:28800
	v_lshlrev_b32_e32 v0, 4, v0
	scratch_store_b32 off, v0, off offset:1580 ; 4-byte Folded Spill
	ds_store_b128 v0, v[96:99]
	ds_store_b128 v0, v[104:107] offset:5760
	scratch_store_b32 off, v137, off offset:1560 ; 4-byte Folded Spill
	ds_store_b128 v137, v[108:111] offset:34560
	ds_store_b128 v137, v[112:115] offset:40320
	scratch_store_b32 off, v138, off offset:1556 ; 4-byte Folded Spill
	ds_store_b128 v138, v[116:119] offset:34560
	;; [unrolled: 3-line block ×3, first 2 shown]
	ds_store_b128 v139, v[128:131] offset:40320
	global_wb scope:SCOPE_SE
	s_wait_storecnt_dscnt 0x0
	s_barrier_signal -1
	s_barrier_wait -1
	global_inv scope:SCOPE_SE
	s_clause 0x3
	global_load_b128 v[8:11], v231, s[10:11] offset:11360
	global_load_b128 v[205:208], v231, s[10:11] offset:12128
	;; [unrolled: 1-line block ×4, first 2 shown]
	ds_load_b128 v[4:7], v231 offset:23040
	ds_load_b128 v[144:147], v231 offset:21504
	s_clause 0x3
	global_load_b128 v[240:243], v231, s[10:11] offset:19040
	global_load_b128 v[189:192], v231, s[10:11] offset:19808
	;; [unrolled: 1-line block ×4, first 2 shown]
	v_add_co_u32 v0, s31, 0xffffffd0, v198
	s_clause 0x2
	global_load_b128 v[193:196], v231, s[10:11] offset:15200
	global_load_b128 v[185:188], v231, s[10:11] offset:18272
	;; [unrolled: 1-line block ×3, first 2 shown]
	s_wait_alu 0xfffd
	v_cndmask_b32_e32 v0, v0, v1, vcc_lo
	s_wait_alu 0xf1ff
	v_add_co_ci_u32_e64 v1, null, 0, 0, s30
	ds_load_b128 v[52:55], v231 offset:9216
	ds_load_b128 v[60:63], v231 offset:10752
	;; [unrolled: 1-line block ×12, first 2 shown]
	s_wait_loadcnt_dscnt 0xa0d
	v_mul_f64_e32 v[2:3], v[6:7], v[10:11]
	scratch_store_b128 off, v[8:11], off offset:1620 ; 16-byte Folded Spill
	s_wait_loadcnt 0x8
	scratch_store_b128 off, v[12:15], off offset:1636 ; 16-byte Folded Spill
	v_fma_f64 v[2:3], v[4:5], v[8:9], -v[2:3]
	v_mul_f64_e32 v[4:5], v[4:5], v[10:11]
	s_delay_alu instid0(VALU_DEP_1) | instskip(SKIP_3) | instid1(VALU_DEP_1)
	v_fma_f64 v[10:11], v[6:7], v[8:9], v[4:5]
	ds_load_b128 v[4:7], v231 offset:24576
	s_wait_dscnt 0x0
	v_mul_f64_e32 v[8:9], v[6:7], v[14:15]
	v_fma_f64 v[16:17], v[4:5], v[12:13], -v[8:9]
	v_mul_f64_e32 v[4:5], v[4:5], v[14:15]
	s_delay_alu instid0(VALU_DEP_1)
	v_fma_f64 v[18:19], v[6:7], v[12:13], v[4:5]
	global_load_b128 v[12:15], v231, s[10:11] offset:14432
	ds_load_b128 v[4:7], v231 offset:26112
	s_wait_loadcnt_dscnt 0x0
	v_mul_f64_e32 v[8:9], v[6:7], v[14:15]
	scratch_store_b128 off, v[12:15], off offset:1652 ; 16-byte Folded Spill
	v_fma_f64 v[24:25], v[4:5], v[12:13], -v[8:9]
	v_mul_f64_e32 v[4:5], v[4:5], v[14:15]
	s_delay_alu instid0(VALU_DEP_2) | instskip(NEXT) | instid1(VALU_DEP_2)
	v_add_f64_e64 v[24:25], v[20:21], -v[24:25]
	v_fma_f64 v[26:27], v[6:7], v[12:13], v[4:5]
	global_load_b128 v[12:15], v231, s[10:11] offset:15968
	ds_load_b128 v[4:7], v231 offset:27648
	v_fma_f64 v[20:21], v[20:21], 2.0, -v[24:25]
	v_add_f64_e64 v[26:27], v[22:23], -v[26:27]
	s_delay_alu instid0(VALU_DEP_1)
	v_fma_f64 v[22:23], v[22:23], 2.0, -v[26:27]
	s_wait_loadcnt_dscnt 0x0
	v_mul_f64_e32 v[8:9], v[6:7], v[14:15]
	scratch_store_b128 off, v[12:15], off offset:1668 ; 16-byte Folded Spill
	v_fma_f64 v[32:33], v[4:5], v[12:13], -v[8:9]
	v_mul_f64_e32 v[4:5], v[4:5], v[14:15]
	s_delay_alu instid0(VALU_DEP_2) | instskip(NEXT) | instid1(VALU_DEP_2)
	v_add_f64_e64 v[32:33], v[28:29], -v[32:33]
	v_fma_f64 v[34:35], v[6:7], v[12:13], v[4:5]
	global_load_b128 v[12:15], v231, s[10:11] offset:17504
	ds_load_b128 v[4:7], v231 offset:29184
	v_fma_f64 v[28:29], v[28:29], 2.0, -v[32:33]
	v_add_f64_e64 v[34:35], v[30:31], -v[34:35]
	s_delay_alu instid0(VALU_DEP_1)
	v_fma_f64 v[30:31], v[30:31], 2.0, -v[34:35]
	s_wait_loadcnt_dscnt 0x0
	v_mul_f64_e32 v[8:9], v[6:7], v[14:15]
	scratch_store_b128 off, v[12:15], off offset:1684 ; 16-byte Folded Spill
	v_fma_f64 v[40:41], v[4:5], v[12:13], -v[8:9]
	v_mul_f64_e32 v[4:5], v[4:5], v[14:15]
	s_delay_alu instid0(VALU_DEP_2) | instskip(NEXT) | instid1(VALU_DEP_2)
	v_add_f64_e64 v[40:41], v[36:37], -v[40:41]
	v_fma_f64 v[42:43], v[6:7], v[12:13], v[4:5]
	ds_load_b128 v[4:7], v231 offset:30720
	ds_load_b128 v[12:15], v231 offset:1536
	s_wait_dscnt 0x1
	v_mul_f64_e32 v[8:9], v[6:7], v[242:243]
	s_wait_dscnt 0x0
	v_add_f64_e64 v[16:17], v[12:13], -v[16:17]
	v_add_f64_e64 v[18:19], v[14:15], -v[18:19]
	v_fma_f64 v[36:37], v[36:37], 2.0, -v[40:41]
	v_add_f64_e64 v[42:43], v[38:39], -v[42:43]
	v_fma_f64 v[48:49], v[4:5], v[240:241], -v[8:9]
	v_mul_f64_e32 v[4:5], v[4:5], v[242:243]
	v_fma_f64 v[12:13], v[12:13], 2.0, -v[16:17]
	v_fma_f64 v[14:15], v[14:15], 2.0, -v[18:19]
	;; [unrolled: 1-line block ×3, first 2 shown]
	v_add_f64_e64 v[48:49], v[44:45], -v[48:49]
	v_fma_f64 v[50:51], v[6:7], v[240:241], v[4:5]
	ds_load_b128 v[4:7], v231 offset:32256
	s_wait_dscnt 0x0
	v_mul_f64_e32 v[8:9], v[6:7], v[234:235]
	v_fma_f64 v[44:45], v[44:45], 2.0, -v[48:49]
	v_add_f64_e64 v[50:51], v[46:47], -v[50:51]
	s_delay_alu instid0(VALU_DEP_3) | instskip(SKIP_1) | instid1(VALU_DEP_3)
	v_fma_f64 v[56:57], v[4:5], v[232:233], -v[8:9]
	v_mul_f64_e32 v[4:5], v[4:5], v[234:235]
	v_fma_f64 v[46:47], v[46:47], 2.0, -v[50:51]
	s_delay_alu instid0(VALU_DEP_3) | instskip(NEXT) | instid1(VALU_DEP_3)
	v_add_f64_e64 v[56:57], v[52:53], -v[56:57]
	v_fma_f64 v[58:59], v[6:7], v[232:233], v[4:5]
	v_add_co_ci_u32_e64 v4, null, 0, -1, s31
	s_delay_alu instid0(VALU_DEP_1) | instskip(NEXT) | instid1(VALU_DEP_1)
	v_cndmask_b32_e32 v1, v4, v1, vcc_lo
	v_lshlrev_b64_e32 v[4:5], 4, v[0:1]
	s_delay_alu instid0(VALU_DEP_1) | instskip(SKIP_1) | instid1(VALU_DEP_2)
	v_add_co_u32 v4, vcc_lo, s10, v4
	s_wait_alu 0xfffd
	v_add_co_ci_u32_e32 v5, vcc_lo, s11, v5, vcc_lo
	v_cmp_lt_u16_e64 vcc_lo, 47, v220
	global_load_b128 v[213:216], v[4:5], off offset:11360
	ds_load_b128 v[4:7], v231 offset:33792
	s_wait_alu 0xfffd
	v_cndmask_b32_e64 v1, 0, 0x5a0, vcc_lo
	s_delay_alu instid0(VALU_DEP_1) | instskip(SKIP_2) | instid1(VALU_DEP_1)
	v_add_lshl_u32 v0, v0, v1, 4
	v_fma_f64 v[52:53], v[52:53], 2.0, -v[56:57]
	v_add_f64_e64 v[58:59], v[54:55], -v[58:59]
	v_fma_f64 v[54:55], v[54:55], 2.0, -v[58:59]
	s_wait_loadcnt_dscnt 0x0
	v_mul_f64_e32 v[8:9], v[6:7], v[215:216]
	s_delay_alu instid0(VALU_DEP_1) | instskip(SKIP_1) | instid1(VALU_DEP_2)
	v_fma_f64 v[64:65], v[4:5], v[213:214], -v[8:9]
	v_mul_f64_e32 v[4:5], v[4:5], v[215:216]
	v_add_f64_e64 v[64:65], v[60:61], -v[64:65]
	s_delay_alu instid0(VALU_DEP_2)
	v_fma_f64 v[66:67], v[6:7], v[213:214], v[4:5]
	ds_load_b128 v[4:7], v231 offset:35328
	s_wait_dscnt 0x0
	v_mul_f64_e32 v[8:9], v[6:7], v[207:208]
	v_fma_f64 v[60:61], v[60:61], 2.0, -v[64:65]
	v_add_f64_e64 v[66:67], v[62:63], -v[66:67]
	s_delay_alu instid0(VALU_DEP_3) | instskip(SKIP_1) | instid1(VALU_DEP_3)
	v_fma_f64 v[72:73], v[4:5], v[205:206], -v[8:9]
	v_mul_f64_e32 v[4:5], v[4:5], v[207:208]
	v_fma_f64 v[62:63], v[62:63], 2.0, -v[66:67]
	s_delay_alu instid0(VALU_DEP_3) | instskip(NEXT) | instid1(VALU_DEP_3)
	v_add_f64_e64 v[72:73], v[68:69], -v[72:73]
	v_fma_f64 v[74:75], v[6:7], v[205:206], v[4:5]
	ds_load_b128 v[4:7], v231 offset:36864
	s_wait_dscnt 0x0
	v_mul_f64_e32 v[8:9], v[6:7], v[211:212]
	v_fma_f64 v[68:69], v[68:69], 2.0, -v[72:73]
	v_add_f64_e64 v[74:75], v[70:71], -v[74:75]
	s_delay_alu instid0(VALU_DEP_3) | instskip(SKIP_1) | instid1(VALU_DEP_3)
	v_fma_f64 v[80:81], v[4:5], v[209:210], -v[8:9]
	v_mul_f64_e32 v[4:5], v[4:5], v[211:212]
	v_fma_f64 v[70:71], v[70:71], 2.0, -v[74:75]
	s_delay_alu instid0(VALU_DEP_3) | instskip(NEXT) | instid1(VALU_DEP_3)
	v_add_f64_e64 v[80:81], v[76:77], -v[80:81]
	;; [unrolled: 12-line block ×7, first 2 shown]
	v_fma_f64 v[126:127], v[6:7], v[178:179], v[4:5]
	ds_load_b128 v[4:7], v231
	global_wb scope:SCOPE_SE
	s_wait_storecnt_dscnt 0x0
	s_barrier_signal -1
	s_barrier_wait -1
	global_inv scope:SCOPE_SE
	v_add_f64_e64 v[8:9], v[4:5], -v[2:3]
	v_add_f64_e64 v[10:11], v[6:7], -v[10:11]
	v_fma_f64 v[144:145], v[144:145], 2.0, -v[160:161]
	v_add_f64_e64 v[162:163], v[146:147], -v[126:127]
	s_delay_alu instid0(VALU_DEP_4) | instskip(NEXT) | instid1(VALU_DEP_4)
	v_fma_f64 v[4:5], v[4:5], 2.0, -v[8:9]
	v_fma_f64 v[6:7], v[6:7], 2.0, -v[10:11]
	ds_store_b128 v231, v[8:11] offset:11520
	ds_store_b128 v231, v[16:19] offset:13056
	;; [unrolled: 1-line block ×7, first 2 shown]
	ds_store_b128 v231, v[4:7]
	ds_store_b128 v231, v[12:15] offset:1536
	ds_store_b128 v231, v[20:23] offset:3072
	ds_store_b128 v231, v[28:31] offset:4608
	ds_store_b128 v231, v[36:39] offset:6144
	ds_store_b128 v231, v[44:47] offset:7680
	ds_store_b128 v231, v[52:55] offset:9216
	v_fma_f64 v[146:147], v[146:147], 2.0, -v[162:163]
	scratch_store_b32 off, v0, off offset:1700 ; 4-byte Folded Spill
	ds_store_b128 v0, v[60:63]
	ds_store_b128 v0, v[64:67] offset:11520
	ds_store_b128 v231, v[68:71] offset:23808
	;; [unrolled: 1-line block ×15, first 2 shown]
	global_wb scope:SCOPE_SE
	s_wait_storecnt_dscnt 0x0
	s_barrier_signal -1
	s_barrier_wait -1
	global_inv scope:SCOPE_SE
	global_load_b128 v[236:239], v231, s[10:11] offset:22880
	ds_load_b128 v[4:7], v231 offset:23040
	s_clause 0xd
	global_load_b128 v[225:228], v231, s[10:11] offset:24416
	global_load_b128 v[221:224], v231, s[10:11] offset:25952
	;; [unrolled: 1-line block ×14, first 2 shown]
	ds_load_b128 v[28:31], v231 offset:4608
	ds_load_b128 v[36:39], v231 offset:6144
	;; [unrolled: 1-line block ×8, first 2 shown]
	s_mul_u64 s[10:11], s[4:5], 0x2400
	s_wait_loadcnt_dscnt 0xe08
	v_mul_f64_e32 v[0:1], v[6:7], v[238:239]
	v_mul_f64_e32 v[2:3], v[4:5], v[238:239]
	s_wait_loadcnt 0x0
	scratch_store_b128 off, v[20:23], off offset:1704 ; 16-byte Folded Spill
	v_fma_f64 v[0:1], v[4:5], v[236:237], -v[0:1]
	v_fma_f64 v[2:3], v[6:7], v[236:237], v[2:3]
	ds_load_b128 v[4:7], v231 offset:24576
	s_wait_dscnt 0x0
	v_mul_f64_e32 v[8:9], v[6:7], v[227:228]
	s_delay_alu instid0(VALU_DEP_1) | instskip(SKIP_1) | instid1(VALU_DEP_1)
	v_fma_f64 v[8:9], v[4:5], v[225:226], -v[8:9]
	v_mul_f64_e32 v[4:5], v[4:5], v[227:228]
	v_fma_f64 v[10:11], v[6:7], v[225:226], v[4:5]
	ds_load_b128 v[4:7], v231 offset:26112
	s_wait_dscnt 0x0
	v_mul_f64_e32 v[12:13], v[6:7], v[223:224]
	s_delay_alu instid0(VALU_DEP_1) | instskip(SKIP_1) | instid1(VALU_DEP_1)
	v_fma_f64 v[16:17], v[4:5], v[221:222], -v[12:13]
	v_mul_f64_e32 v[4:5], v[4:5], v[223:224]
	v_fma_f64 v[18:19], v[6:7], v[221:222], v[4:5]
	ds_load_b128 v[4:7], v231 offset:27648
	s_wait_dscnt 0x0
	v_mul_f64_e32 v[12:13], v[6:7], v[219:220]
	s_delay_alu instid0(VALU_DEP_1) | instskip(SKIP_1) | instid1(VALU_DEP_2)
	v_fma_f64 v[32:33], v[4:5], v[217:218], -v[12:13]
	v_mul_f64_e32 v[4:5], v[4:5], v[219:220]
	v_add_f64_e64 v[32:33], v[28:29], -v[32:33]
	s_delay_alu instid0(VALU_DEP_2)
	v_fma_f64 v[34:35], v[6:7], v[217:218], v[4:5]
	ds_load_b128 v[4:7], v231 offset:29184
	s_wait_dscnt 0x0
	v_mul_f64_e32 v[12:13], v[6:7], v[203:204]
	v_fma_f64 v[84:85], v[28:29], 2.0, -v[32:33]
	v_add_f64_e64 v[34:35], v[30:31], -v[34:35]
	s_delay_alu instid0(VALU_DEP_3) | instskip(SKIP_1) | instid1(VALU_DEP_3)
	v_fma_f64 v[40:41], v[4:5], v[201:202], -v[12:13]
	v_mul_f64_e32 v[4:5], v[4:5], v[203:204]
	v_fma_f64 v[86:87], v[30:31], 2.0, -v[34:35]
	s_delay_alu instid0(VALU_DEP_3) | instskip(NEXT) | instid1(VALU_DEP_3)
	v_add_f64_e64 v[40:41], v[36:37], -v[40:41]
	v_fma_f64 v[42:43], v[6:7], v[201:202], v[4:5]
	ds_load_b128 v[4:7], v231 offset:30720
	s_wait_dscnt 0x0
	v_mul_f64_e32 v[12:13], v[6:7], v[176:177]
	v_fma_f64 v[80:81], v[36:37], 2.0, -v[40:41]
	v_add_f64_e64 v[42:43], v[38:39], -v[42:43]
	s_delay_alu instid0(VALU_DEP_3) | instskip(SKIP_1) | instid1(VALU_DEP_3)
	v_fma_f64 v[48:49], v[4:5], v[174:175], -v[12:13]
	v_mul_f64_e32 v[4:5], v[4:5], v[176:177]
	v_fma_f64 v[82:83], v[38:39], 2.0, -v[42:43]
	s_delay_alu instid0(VALU_DEP_3) | instskip(NEXT) | instid1(VALU_DEP_3)
	v_add_f64_e64 v[48:49], v[44:45], -v[48:49]
	;; [unrolled: 12-line block ×5, first 2 shown]
	v_fma_f64 v[94:95], v[6:7], v[160:161], v[4:5]
	ds_load_b128 v[4:7], v231 offset:36864
	s_wait_dscnt 0x0
	v_mul_f64_e32 v[12:13], v[6:7], v[158:159]
	v_fma_f64 v[68:69], v[68:69], 2.0, -v[92:93]
	v_add_f64_e64 v[94:95], v[70:71], -v[94:95]
	s_delay_alu instid0(VALU_DEP_3) | instskip(SKIP_1) | instid1(VALU_DEP_3)
	v_fma_f64 v[100:101], v[4:5], v[156:157], -v[12:13]
	v_mul_f64_e32 v[4:5], v[4:5], v[158:159]
	v_fma_f64 v[70:71], v[70:71], 2.0, -v[94:95]
	s_delay_alu instid0(VALU_DEP_2) | instskip(SKIP_3) | instid1(VALU_DEP_1)
	v_fma_f64 v[102:103], v[6:7], v[156:157], v[4:5]
	ds_load_b128 v[4:7], v231 offset:38400
	s_wait_dscnt 0x0
	v_mul_f64_e32 v[12:13], v[6:7], v[154:155]
	v_fma_f64 v[112:113], v[4:5], v[152:153], -v[12:13]
	v_mul_f64_e32 v[4:5], v[4:5], v[154:155]
	s_delay_alu instid0(VALU_DEP_1) | instskip(SKIP_3) | instid1(VALU_DEP_1)
	v_fma_f64 v[114:115], v[6:7], v[152:153], v[4:5]
	ds_load_b128 v[4:7], v231 offset:39936
	s_wait_dscnt 0x0
	v_mul_f64_e32 v[12:13], v[6:7], v[150:151]
	v_fma_f64 v[116:117], v[4:5], v[148:149], -v[12:13]
	v_mul_f64_e32 v[4:5], v[4:5], v[150:151]
	s_delay_alu instid0(VALU_DEP_1) | instskip(SKIP_3) | instid1(VALU_DEP_1)
	;; [unrolled: 7-line block ×4, first 2 shown]
	v_fma_f64 v[126:127], v[6:7], v[140:141], v[4:5]
	ds_load_b128 v[4:7], v231 offset:44544
	s_wait_dscnt 0x0
	v_mul_f64_e32 v[12:13], v[6:7], v[22:23]
	v_fma_f64 v[128:129], v[4:5], v[20:21], -v[12:13]
	v_mul_f64_e32 v[4:5], v[4:5], v[22:23]
	ds_load_b128 v[12:15], v231 offset:1536
	s_wait_dscnt 0x0
	v_add_f64_e64 v[72:73], v[12:13], -v[8:9]
	v_add_f64_e64 v[74:75], v[14:15], -v[10:11]
	v_fma_f64 v[130:131], v[6:7], v[20:21], v[4:5]
	ds_load_b128 v[4:7], v231
	ds_load_b128 v[20:23], v231 offset:3072
	s_wait_dscnt 0x1
	v_add_f64_e64 v[76:77], v[4:5], -v[0:1]
	v_add_f64_e64 v[78:79], v[6:7], -v[2:3]
	ds_load_b128 v[0:3], v231 offset:16896
	s_wait_dscnt 0x1
	v_add_f64_e64 v[24:25], v[20:21], -v[16:17]
	v_add_f64_e64 v[26:27], v[22:23], -v[18:19]
	;; [unrolled: 1-line block ×4, first 2 shown]
	v_fma_f64 v[104:105], v[12:13], 2.0, -v[72:73]
	v_fma_f64 v[106:107], v[14:15], 2.0, -v[74:75]
	v_add_f64_e64 v[12:13], v[248:249], -v[112:113]
	v_add_f64_e64 v[14:15], v[250:251], -v[114:115]
	s_wait_dscnt 0x0
	v_add_f64_e64 v[244:245], v[0:1], -v[116:117]
	v_add_f64_e64 v[246:247], v[2:3], -v[118:119]
	v_fma_f64 v[108:109], v[4:5], 2.0, -v[76:77]
	v_fma_f64 v[110:111], v[6:7], 2.0, -v[78:79]
	v_fma_f64 v[88:89], v[20:21], 2.0, -v[24:25]
	v_fma_f64 v[90:91], v[22:23], 2.0, -v[26:27]
	v_fma_f64 v[96:97], v[96:97], 2.0, -v[16:17]
	v_fma_f64 v[98:99], v[98:99], 2.0, -v[18:19]
	v_fma_f64 v[248:249], v[248:249], 2.0, -v[12:13]
	v_fma_f64 v[250:251], v[250:251], 2.0, -v[14:15]
	v_fma_f64 v[36:37], v[0:1], 2.0, -v[244:245]
	v_fma_f64 v[38:39], v[2:3], 2.0, -v[246:247]
	ds_load_b128 v[0:3], v231 offset:18432
	s_wait_dscnt 0x0
	v_add_f64_e64 v[252:253], v[0:1], -v[120:121]
	v_add_f64_e64 v[254:255], v[2:3], -v[122:123]
	s_delay_alu instid0(VALU_DEP_2) | instskip(NEXT) | instid1(VALU_DEP_2)
	v_fma_f64 v[28:29], v[0:1], 2.0, -v[252:253]
	v_fma_f64 v[30:31], v[2:3], 2.0, -v[254:255]
	ds_load_b128 v[0:3], v231 offset:19968
	s_wait_dscnt 0x0
	v_add_f64_e64 v[8:9], v[0:1], -v[124:125]
	v_add_f64_e64 v[10:11], v[2:3], -v[126:127]
	s_delay_alu instid0(VALU_DEP_2) | instskip(NEXT) | instid1(VALU_DEP_2)
	v_fma_f64 v[20:21], v[0:1], 2.0, -v[8:9]
	v_fma_f64 v[22:23], v[2:3], 2.0, -v[10:11]
	;; [unrolled: 7-line block ×3, first 2 shown]
	ds_store_b128 v231, v[76:79] offset:23040
	ds_store_b128 v231, v[72:75] offset:24576
	;; [unrolled: 1-line block ×15, first 2 shown]
	ds_store_b128 v231, v[108:111]
	ds_store_b128 v231, v[104:107] offset:1536
	ds_store_b128 v231, v[88:91] offset:3072
	;; [unrolled: 1-line block ×14, first 2 shown]
	global_wb scope:SCOPE_SE
	s_wait_storecnt_dscnt 0x0
	s_barrier_signal -1
	s_barrier_wait -1
	global_inv scope:SCOPE_SE
	global_load_b128 v[4:7], v231, s[8:9] offset:46080
	ds_load_b128 v[8:11], v231
	ds_load_b128 v[62:65], v231 offset:1536
	s_add_nc_u64 s[8:9], s[8:9], 0xb400
	ds_load_b128 v[14:17], v231 offset:9216
	ds_load_b128 v[68:71], v231 offset:6144
	;; [unrolled: 1-line block ×16, first 2 shown]
	s_clause 0x1
	global_load_b128 v[104:107], v231, s[8:9] offset:33792
	global_load_b128 v[244:247], v231, s[8:9] offset:38400
	s_wait_loadcnt_dscnt 0x211
	v_mul_f64_e32 v[0:1], v[10:11], v[6:7]
	v_mul_f64_e32 v[2:3], v[8:9], v[6:7]
	s_delay_alu instid0(VALU_DEP_2) | instskip(NEXT) | instid1(VALU_DEP_2)
	v_fma_f64 v[136:137], v[8:9], v[4:5], -v[0:1]
	v_fma_f64 v[138:139], v[10:11], v[4:5], v[2:3]
	global_load_b128 v[4:7], v231, s[8:9] offset:4608
	ds_load_b128 v[8:11], v231 offset:4608
	s_wait_loadcnt_dscnt 0x0
	v_mul_f64_e32 v[2:3], v[8:9], v[6:7]
	v_mul_f64_e32 v[0:1], v[10:11], v[6:7]
	s_delay_alu instid0(VALU_DEP_2)
	v_fma_f64 v[134:135], v[10:11], v[4:5], v[2:3]
	global_load_b128 v[10:13], v231, s[8:9] offset:9216
	v_fma_f64 v[132:133], v[8:9], v[4:5], -v[0:1]
	s_wait_loadcnt 0x0
	v_mul_f64_e32 v[2:3], v[14:15], v[12:13]
	v_mul_f64_e32 v[0:1], v[16:17], v[12:13]
	s_delay_alu instid0(VALU_DEP_2)
	v_fma_f64 v[130:131], v[16:17], v[10:11], v[2:3]
	global_load_b128 v[16:19], v231, s[8:9] offset:13824
	v_fma_f64 v[128:129], v[14:15], v[10:11], -v[0:1]
	global_load_b128 v[8:11], v231, s[8:9] offset:7680
	s_wait_loadcnt 0x1
	v_mul_f64_e32 v[2:3], v[20:21], v[18:19]
	v_mul_f64_e32 v[0:1], v[22:23], v[18:19]
	s_delay_alu instid0(VALU_DEP_2)
	v_fma_f64 v[126:127], v[22:23], v[16:17], v[2:3]
	global_load_b128 v[22:25], v231, s[8:9] offset:18432
	v_fma_f64 v[124:125], v[20:21], v[16:17], -v[0:1]
	s_wait_loadcnt 0x0
	v_mul_f64_e32 v[2:3], v[26:27], v[24:25]
	v_mul_f64_e32 v[0:1], v[28:29], v[24:25]
	s_delay_alu instid0(VALU_DEP_2)
	v_fma_f64 v[122:123], v[28:29], v[22:23], v[2:3]
	global_load_b128 v[28:31], v231, s[8:9] offset:23040
	v_fma_f64 v[120:121], v[26:27], v[22:23], -v[0:1]
	ds_load_b128 v[20:23], v231 offset:21504
	s_wait_loadcnt 0x0
	v_mul_f64_e32 v[2:3], v[32:33], v[30:31]
	v_mul_f64_e32 v[0:1], v[34:35], v[30:31]
	s_delay_alu instid0(VALU_DEP_2)
	v_fma_f64 v[118:119], v[34:35], v[28:29], v[2:3]
	global_load_b128 v[34:37], v231, s[8:9] offset:27648
	v_fma_f64 v[116:117], v[32:33], v[28:29], -v[0:1]
	s_wait_loadcnt 0x0
	v_mul_f64_e32 v[2:3], v[38:39], v[36:37]
	v_mul_f64_e32 v[0:1], v[40:41], v[36:37]
	s_delay_alu instid0(VALU_DEP_2)
	v_fma_f64 v[114:115], v[40:41], v[34:35], v[2:3]
	global_load_b128 v[40:43], v231, s[8:9] offset:32256
	v_fma_f64 v[112:113], v[38:39], v[34:35], -v[0:1]
	ds_load_b128 v[32:35], v231 offset:39936
	s_wait_loadcnt 0x0
	v_mul_f64_e32 v[0:1], v[46:47], v[42:43]
	v_mul_f64_e32 v[2:3], v[44:45], v[42:43]
	s_delay_alu instid0(VALU_DEP_2) | instskip(NEXT) | instid1(VALU_DEP_2)
	v_fma_f64 v[42:43], v[44:45], v[40:41], -v[0:1]
	v_fma_f64 v[44:45], v[46:47], v[40:41], v[2:3]
	global_load_b128 v[46:49], v231, s[8:9] offset:36864
	s_wait_loadcnt 0x0
	v_mul_f64_e32 v[0:1], v[52:53], v[48:49]
	v_mul_f64_e32 v[2:3], v[50:51], v[48:49]
	s_delay_alu instid0(VALU_DEP_2) | instskip(NEXT) | instid1(VALU_DEP_2)
	v_fma_f64 v[48:49], v[50:51], v[46:47], -v[0:1]
	v_fma_f64 v[50:51], v[52:53], v[46:47], v[2:3]
	global_load_b128 v[52:55], v231, s[8:9] offset:41472
	;; [unrolled: 7-line block ×9, first 2 shown]
	s_wait_loadcnt 0x0
	v_mul_f64_e32 v[0:1], v[100:101], v[96:97]
	v_mul_f64_e32 v[2:3], v[98:99], v[96:97]
	s_delay_alu instid0(VALU_DEP_2) | instskip(NEXT) | instid1(VALU_DEP_2)
	v_fma_f64 v[96:97], v[98:99], v[94:95], -v[0:1]
	v_fma_f64 v[98:99], v[100:101], v[94:95], v[2:3]
	v_mul_f64_e32 v[0:1], v[110:111], v[106:107]
	v_mul_f64_e32 v[2:3], v[108:109], v[106:107]
	ds_load_b128 v[100:103], v231 offset:30720
	v_fma_f64 v[106:107], v[108:109], v[104:105], -v[0:1]
	v_fma_f64 v[108:109], v[110:111], v[104:105], v[2:3]
	v_mul_f64_e32 v[0:1], v[250:251], v[246:247]
	v_mul_f64_e32 v[2:3], v[248:249], v[246:247]
	s_delay_alu instid0(VALU_DEP_2) | instskip(NEXT) | instid1(VALU_DEP_2)
	v_fma_f64 v[246:247], v[248:249], v[244:245], -v[0:1]
	v_fma_f64 v[248:249], v[250:251], v[244:245], v[2:3]
	global_load_b128 v[250:253], v231, s[8:9] offset:43008
	ds_load_b128 v[0:3], v231 offset:43008
	s_wait_loadcnt_dscnt 0x0
	v_mul_f64_e32 v[4:5], v[2:3], v[252:253]
	v_mul_f64_e32 v[6:7], v[0:1], v[252:253]
	s_delay_alu instid0(VALU_DEP_2) | instskip(NEXT) | instid1(VALU_DEP_2)
	v_fma_f64 v[36:37], v[0:1], v[250:251], -v[4:5]
	v_fma_f64 v[38:39], v[2:3], v[250:251], v[6:7]
	global_load_b128 v[250:253], v231, s[8:9] offset:3072
	ds_load_b128 v[0:3], v231 offset:3072
	s_wait_loadcnt_dscnt 0x0
	v_mul_f64_e32 v[4:5], v[2:3], v[252:253]
	v_mul_f64_e32 v[6:7], v[0:1], v[252:253]
	s_delay_alu instid0(VALU_DEP_2) | instskip(NEXT) | instid1(VALU_DEP_2)
	v_fma_f64 v[28:29], v[0:1], v[250:251], -v[4:5]
	v_fma_f64 v[30:31], v[2:3], v[250:251], v[6:7]
	ds_load_b128 v[250:253], v231 offset:7680
	s_wait_dscnt 0x0
	v_mul_f64_e32 v[0:1], v[252:253], v[10:11]
	v_mul_f64_e32 v[2:3], v[250:251], v[10:11]
	s_delay_alu instid0(VALU_DEP_2) | instskip(NEXT) | instid1(VALU_DEP_2)
	v_fma_f64 v[250:251], v[250:251], v[8:9], -v[0:1]
	v_fma_f64 v[252:253], v[252:253], v[8:9], v[2:3]
	global_load_b128 v[8:11], v231, s[8:9] offset:12288
	ds_load_b128 v[0:3], v231 offset:12288
	s_wait_loadcnt_dscnt 0x0
	v_mul_f64_e32 v[4:5], v[2:3], v[10:11]
	v_mul_f64_e32 v[6:7], v[0:1], v[10:11]
	s_delay_alu instid0(VALU_DEP_2) | instskip(NEXT) | instid1(VALU_DEP_2)
	v_fma_f64 v[24:25], v[0:1], v[8:9], -v[4:5]
	v_fma_f64 v[26:27], v[2:3], v[8:9], v[6:7]
	global_load_b128 v[8:11], v231, s[8:9] offset:16896
	ds_load_b128 v[0:3], v231 offset:16896
	s_wait_loadcnt_dscnt 0x0
	v_mul_f64_e32 v[4:5], v[2:3], v[10:11]
	v_mul_f64_e32 v[6:7], v[0:1], v[10:11]
	s_delay_alu instid0(VALU_DEP_2) | instskip(NEXT) | instid1(VALU_DEP_2)
	v_fma_f64 v[16:17], v[0:1], v[8:9], -v[4:5]
	v_fma_f64 v[18:19], v[2:3], v[8:9], v[6:7]
	global_load_b128 v[8:11], v231, s[8:9] offset:21504
	s_wait_loadcnt 0x0
	v_mul_f64_e32 v[0:1], v[22:23], v[10:11]
	v_mul_f64_e32 v[2:3], v[20:21], v[10:11]
	s_delay_alu instid0(VALU_DEP_2) | instskip(NEXT) | instid1(VALU_DEP_2)
	v_fma_f64 v[20:21], v[20:21], v[8:9], -v[0:1]
	v_fma_f64 v[22:23], v[22:23], v[8:9], v[2:3]
	global_load_b128 v[8:11], v231, s[8:9] offset:26112
	ds_load_b128 v[0:3], v231 offset:26112
	s_wait_loadcnt_dscnt 0x0
	v_mul_f64_e32 v[4:5], v[2:3], v[10:11]
	v_mul_f64_e32 v[6:7], v[0:1], v[10:11]
	s_delay_alu instid0(VALU_DEP_2) | instskip(NEXT) | instid1(VALU_DEP_2)
	v_fma_f64 v[12:13], v[0:1], v[8:9], -v[4:5]
	v_fma_f64 v[14:15], v[2:3], v[8:9], v[6:7]
	global_load_b128 v[8:11], v231, s[8:9] offset:30720
	s_wait_loadcnt 0x0
	v_mul_f64_e32 v[0:1], v[102:103], v[10:11]
	v_mul_f64_e32 v[2:3], v[100:101], v[10:11]
	s_delay_alu instid0(VALU_DEP_2) | instskip(NEXT) | instid1(VALU_DEP_2)
	v_fma_f64 v[100:101], v[100:101], v[8:9], -v[0:1]
	v_fma_f64 v[102:103], v[102:103], v[8:9], v[2:3]
	global_load_b128 v[8:11], v231, s[8:9] offset:35328
	ds_load_b128 v[0:3], v231 offset:35328
	s_wait_loadcnt_dscnt 0x0
	v_mul_f64_e32 v[4:5], v[2:3], v[10:11]
	v_mul_f64_e32 v[6:7], v[0:1], v[10:11]
	s_delay_alu instid0(VALU_DEP_2) | instskip(NEXT) | instid1(VALU_DEP_2)
	v_fma_f64 v[4:5], v[0:1], v[8:9], -v[4:5]
	v_fma_f64 v[6:7], v[2:3], v[8:9], v[6:7]
	global_load_b128 v[8:11], v231, s[8:9] offset:39936
	s_wait_loadcnt 0x0
	v_mul_f64_e32 v[0:1], v[34:35], v[10:11]
	v_mul_f64_e32 v[2:3], v[32:33], v[10:11]
	s_delay_alu instid0(VALU_DEP_2) | instskip(NEXT) | instid1(VALU_DEP_2)
	v_fma_f64 v[32:33], v[32:33], v[8:9], -v[0:1]
	v_fma_f64 v[34:35], v[34:35], v[8:9], v[2:3]
	global_load_b128 v[8:11], v231, s[8:9] offset:44544
	ds_load_b128 v[0:3], v231 offset:44544
	s_mul_u64 s[8:9], s[4:5], 0x1200
	s_wait_loadcnt_dscnt 0x0
	v_mul_f64_e32 v[40:41], v[2:3], v[10:11]
	v_mul_f64_e32 v[10:11], v[0:1], v[10:11]
	s_delay_alu instid0(VALU_DEP_2) | instskip(NEXT) | instid1(VALU_DEP_2)
	v_fma_f64 v[0:1], v[0:1], v[8:9], -v[40:41]
	v_fma_f64 v[2:3], v[2:3], v[8:9], v[10:11]
	ds_store_b128 v231, v[136:139]
	ds_store_b128 v231, v[132:135] offset:4608
	ds_store_b128 v231, v[128:131] offset:9216
	ds_store_b128 v231, v[124:127] offset:13824
	ds_store_b128 v231, v[120:123] offset:18432
	ds_store_b128 v231, v[116:119] offset:23040
	ds_store_b128 v231, v[112:115] offset:27648
	ds_store_b128 v231, v[42:45] offset:32256
	ds_store_b128 v231, v[48:51] offset:36864
	ds_store_b128 v231, v[54:57] offset:41472
	ds_store_b128 v231, v[60:63] offset:1536
	ds_store_b128 v231, v[66:69] offset:6144
	ds_store_b128 v231, v[72:75] offset:10752
	ds_store_b128 v231, v[78:81] offset:15360
	ds_store_b128 v231, v[84:87] offset:19968
	ds_store_b128 v231, v[90:93] offset:24576
	ds_store_b128 v231, v[96:99] offset:29184
	ds_store_b128 v231, v[106:109] offset:33792
	ds_store_b128 v231, v[246:249] offset:38400
	ds_store_b128 v231, v[36:39] offset:43008
	ds_store_b128 v231, v[28:31] offset:3072
	ds_store_b128 v231, v[250:253] offset:7680
	ds_store_b128 v231, v[24:27] offset:12288
	ds_store_b128 v231, v[16:19] offset:16896
	ds_store_b128 v231, v[20:23] offset:21504
	ds_store_b128 v231, v[12:15] offset:26112
	ds_store_b128 v231, v[100:103] offset:30720
	ds_store_b128 v231, v[4:7] offset:35328
	ds_store_b128 v231, v[32:35] offset:39936
	ds_store_b128 v231, v[0:3] offset:44544
	global_wb scope:SCOPE_SE
	s_wait_dscnt 0x0
	s_barrier_signal -1
	s_barrier_wait -1
	global_inv scope:SCOPE_SE
	ds_load_b128 v[0:3], v231 offset:9216
	ds_load_b128 v[4:7], v231
	ds_load_b128 v[8:11], v231 offset:18432
	s_wait_dscnt 0x1
	v_add_f64_e32 v[12:13], v[4:5], v[0:1]
	s_wait_dscnt 0x0
	v_add_f64_e64 v[24:25], v[0:1], -v[8:9]
	v_add_f64_e64 v[26:27], v[8:9], -v[0:1]
	v_add_f64_e64 v[32:33], v[2:3], -v[10:11]
	v_add_f64_e64 v[34:35], v[10:11], -v[2:3]
	v_add_f64_e32 v[16:17], v[12:13], v[8:9]
	v_add_f64_e32 v[12:13], v[6:7], v[2:3]
	s_delay_alu instid0(VALU_DEP_1)
	v_add_f64_e32 v[18:19], v[12:13], v[10:11]
	ds_load_b128 v[12:15], v231 offset:27648
	s_wait_dscnt 0x0
	v_add_f64_e32 v[20:21], v[8:9], v[12:13]
	v_add_f64_e64 v[22:23], v[10:11], -v[14:15]
	v_add_f64_e32 v[28:29], v[10:11], v[14:15]
	v_add_f64_e64 v[30:31], v[8:9], -v[12:13]
	ds_load_b128 v[8:11], v231 offset:36864
	s_wait_dscnt 0x0
	v_add_f64_e64 v[36:37], v[2:3], -v[10:11]
	v_add_f64_e32 v[38:39], v[0:1], v[8:9]
	v_add_f64_e64 v[40:41], v[0:1], -v[8:9]
	v_add_f64_e32 v[42:43], v[2:3], v[10:11]
	v_add_f64_e32 v[0:1], v[16:17], v[12:13]
	;; [unrolled: 1-line block ×3, first 2 shown]
	v_add_f64_e64 v[44:45], v[8:9], -v[12:13]
	v_add_f64_e64 v[60:61], v[12:13], -v[8:9]
	;; [unrolled: 1-line block ×4, first 2 shown]
	v_add_f64_e32 v[48:49], v[0:1], v[8:9]
	v_add_f64_e32 v[50:51], v[2:3], v[10:11]
	ds_load_b128 v[0:3], v231 offset:13824
	ds_load_b128 v[8:11], v231 offset:4608
	;; [unrolled: 1-line block ×3, first 2 shown]
	v_add_f64_e32 v[26:27], v[26:27], v[60:61]
	v_add_f64_e32 v[34:35], v[34:35], v[62:63]
	s_wait_dscnt 0x1
	v_add_f64_e32 v[16:17], v[8:9], v[0:1]
	s_wait_dscnt 0x0
	v_add_f64_e64 v[64:65], v[0:1], -v[12:13]
	v_add_f64_e64 v[66:67], v[12:13], -v[0:1]
	;; [unrolled: 1-line block ×4, first 2 shown]
	v_add_f64_e32 v[52:53], v[16:17], v[12:13]
	v_add_f64_e32 v[16:17], v[10:11], v[2:3]
	s_delay_alu instid0(VALU_DEP_1)
	v_add_f64_e32 v[54:55], v[16:17], v[14:15]
	ds_load_b128 v[16:19], v231 offset:32256
	s_wait_dscnt 0x0
	v_add_f64_e32 v[56:57], v[12:13], v[16:17]
	v_add_f64_e64 v[76:77], v[14:15], -v[18:19]
	v_add_f64_e32 v[58:59], v[14:15], v[18:19]
	v_add_f64_e64 v[78:79], v[12:13], -v[16:17]
	ds_load_b128 v[12:15], v231 offset:41472
	s_wait_dscnt 0x0
	v_add_f64_e64 v[80:81], v[2:3], -v[14:15]
	v_add_f64_e32 v[72:73], v[0:1], v[12:13]
	v_add_f64_e64 v[82:83], v[0:1], -v[12:13]
	v_add_f64_e32 v[0:1], v[2:3], v[14:15]
	v_add_f64_e32 v[2:3], v[52:53], v[16:17]
	;; [unrolled: 1-line block ×3, first 2 shown]
	v_add_f64_e64 v[74:75], v[12:13], -v[16:17]
	v_add_f64_e64 v[16:17], v[16:17], -v[12:13]
	;; [unrolled: 1-line block ×4, first 2 shown]
	v_add_f64_e32 v[2:3], v[2:3], v[12:13]
	v_add_f64_e32 v[12:13], v[52:53], v[14:15]
	v_fma_f64 v[14:15], v[20:21], -0.5, v[4:5]
	v_fma_f64 v[20:21], v[28:29], -0.5, v[6:7]
	;; [unrolled: 1-line block ×7, first 2 shown]
	v_add_f64_e32 v[42:43], v[68:69], v[84:85]
	v_fma_f64 v[8:9], v[72:73], -0.5, v[8:9]
	v_add_f64_e32 v[18:19], v[70:71], v[18:19]
	v_add_f64_e32 v[16:17], v[66:67], v[16:17]
	;; [unrolled: 1-line block ×3, first 2 shown]
	v_add_f64_e64 v[52:53], v[48:49], -v[2:3]
	v_add_f64_e32 v[58:59], v[50:51], v[12:13]
	v_add_f64_e64 v[54:55], v[50:51], -v[12:13]
	v_fma_f64 v[0:1], v[82:83], s[20:21], v[28:29]
	v_add_f64_e32 v[12:13], v[24:25], v[44:45]
	v_fma_f64 v[2:3], v[80:81], s[22:23], v[38:39]
	v_add_f64_e32 v[24:25], v[32:33], v[46:47]
	v_add_f64_e32 v[32:33], v[64:65], v[74:75]
	v_fma_f64 v[0:1], v[78:79], s[14:15], v[0:1]
	s_delay_alu instid0(VALU_DEP_4) | instskip(NEXT) | instid1(VALU_DEP_2)
	v_fma_f64 v[2:3], v[76:77], s[16:17], v[2:3]
	v_fma_f64 v[0:1], v[42:43], s[18:19], v[0:1]
	s_delay_alu instid0(VALU_DEP_2) | instskip(NEXT) | instid1(VALU_DEP_2)
	v_fma_f64 v[2:3], v[32:33], s[18:19], v[2:3]
	v_mul_f64_e32 v[44:45], s[16:17], v[0:1]
	s_delay_alu instid0(VALU_DEP_1) | instskip(SKIP_2) | instid1(VALU_DEP_2)
	v_fma_f64 v[48:49], v[2:3], s[24:25], v[44:45]
	v_mul_f64_e32 v[2:3], s[14:15], v[2:3]
	v_fma_f64 v[44:45], v[40:41], s[20:21], v[20:21]
	v_fma_f64 v[0:1], v[0:1], s[24:25], v[2:3]
	v_fma_f64 v[2:3], v[36:37], s[22:23], v[14:15]
	s_delay_alu instid0(VALU_DEP_3) | instskip(NEXT) | instid1(VALU_DEP_2)
	v_fma_f64 v[44:45], v[30:31], s[14:15], v[44:45]
	v_fma_f64 v[2:3], v[22:23], s[16:17], v[2:3]
	s_delay_alu instid0(VALU_DEP_2) | instskip(NEXT) | instid1(VALU_DEP_2)
	v_fma_f64 v[50:51], v[24:25], s[18:19], v[44:45]
	v_fma_f64 v[2:3], v[12:13], s[18:19], v[2:3]
	s_delay_alu instid0(VALU_DEP_2)
	v_add_f64_e32 v[46:47], v[50:51], v[0:1]
	v_add_f64_e64 v[50:51], v[50:51], -v[0:1]
	v_fma_f64 v[0:1], v[78:79], s[22:23], v[10:11]
	v_fma_f64 v[10:11], v[78:79], s[20:21], v[10:11]
	v_add_f64_e32 v[44:45], v[2:3], v[48:49]
	v_add_f64_e64 v[48:49], v[2:3], -v[48:49]
	v_fma_f64 v[2:3], v[76:77], s[20:21], v[8:9]
	v_fma_f64 v[0:1], v[82:83], s[14:15], v[0:1]
	;; [unrolled: 1-line block ×4, first 2 shown]
	s_delay_alu instid0(VALU_DEP_4) | instskip(NEXT) | instid1(VALU_DEP_4)
	v_fma_f64 v[2:3], v[80:81], s[16:17], v[2:3]
	v_fma_f64 v[0:1], v[18:19], s[18:19], v[0:1]
	s_delay_alu instid0(VALU_DEP_4) | instskip(NEXT) | instid1(VALU_DEP_4)
	v_fma_f64 v[10:11], v[18:19], s[18:19], v[10:11]
	v_fma_f64 v[8:9], v[80:81], s[14:15], v[8:9]
	s_delay_alu instid0(VALU_DEP_4) | instskip(NEXT) | instid1(VALU_DEP_4)
	v_fma_f64 v[2:3], v[16:17], s[18:19], v[2:3]
	v_mul_f64_e32 v[60:61], s[22:23], v[0:1]
	v_mul_f64_e32 v[0:1], s[18:19], v[0:1]
	s_delay_alu instid0(VALU_DEP_4)
	v_fma_f64 v[8:9], v[16:17], s[18:19], v[8:9]
	v_mul_f64_e32 v[16:17], s[22:23], v[10:11]
	v_mul_f64_e32 v[10:11], s[26:27], v[10:11]
	v_fma_f64 v[60:61], v[2:3], s[18:19], v[60:61]
	v_fma_f64 v[62:63], v[2:3], s[20:21], v[0:1]
	;; [unrolled: 1-line block ×19, first 2 shown]
	v_add_f64_e32 v[0:1], v[64:65], v[60:61]
	v_add_f64_e32 v[68:69], v[4:5], v[16:17]
	v_add_f64_e64 v[72:73], v[4:5], -v[16:17]
	v_fma_f64 v[4:5], v[82:83], s[22:23], v[28:29]
	v_add_f64_e32 v[70:71], v[6:7], v[8:9]
	v_add_f64_e64 v[74:75], v[6:7], -v[8:9]
	v_fma_f64 v[6:7], v[36:37], s[20:21], v[14:15]
	v_fma_f64 v[8:9], v[40:41], s[22:23], v[20:21]
	v_add_f64_e32 v[2:3], v[66:67], v[62:63]
	v_add_f64_e64 v[64:65], v[64:65], -v[60:61]
	v_add_f64_e64 v[66:67], v[66:67], -v[62:63]
	v_fma_f64 v[4:5], v[78:79], s[16:17], v[4:5]
	v_fma_f64 v[6:7], v[22:23], s[14:15], v[6:7]
	;; [unrolled: 1-line block ×3, first 2 shown]
	s_delay_alu instid0(VALU_DEP_3) | instskip(NEXT) | instid1(VALU_DEP_3)
	v_fma_f64 v[4:5], v[42:43], s[18:19], v[4:5]
	v_fma_f64 v[6:7], v[12:13], s[18:19], v[6:7]
	s_delay_alu instid0(VALU_DEP_3) | instskip(NEXT) | instid1(VALU_DEP_3)
	v_fma_f64 v[8:9], v[24:25], s[18:19], v[8:9]
	v_mul_f64_e32 v[12:13], s[16:17], v[4:5]
	v_mul_f64_e32 v[4:5], s[28:29], v[4:5]
	s_delay_alu instid0(VALU_DEP_2) | instskip(NEXT) | instid1(VALU_DEP_2)
	v_fma_f64 v[12:13], v[10:11], s[28:29], v[12:13]
	v_fma_f64 v[4:5], v[10:11], s[14:15], v[4:5]
	s_delay_alu instid0(VALU_DEP_2) | instskip(NEXT) | instid1(VALU_DEP_2)
	v_add_f64_e32 v[76:77], v[6:7], v[12:13]
	v_add_f64_e32 v[78:79], v[8:9], v[4:5]
	v_add_f64_e64 v[80:81], v[6:7], -v[12:13]
	v_add_f64_e64 v[82:83], v[8:9], -v[4:5]
	ds_load_b128 v[32:35], v231 offset:1536
	ds_load_b128 v[84:87], v231 offset:10752
	;; [unrolled: 1-line block ×20, first 2 shown]
	global_wb scope:SCOPE_SE
	s_wait_dscnt 0x0
	s_barrier_signal -1
	s_barrier_wait -1
	global_inv scope:SCOPE_SE
	ds_store_b128 v182, v[56:59]
	ds_store_b128 v182, v[52:55] offset:80
	ds_store_b128 v182, v[44:47] offset:16
	;; [unrolled: 1-line block ×9, first 2 shown]
	v_add_f64_e32 v[0:1], v[32:33], v[84:85]
	v_add_f64_e32 v[2:3], v[34:35], v[86:87]
	;; [unrolled: 1-line block ×3, first 2 shown]
	v_add_f64_e64 v[74:75], v[88:89], -v[92:93]
	v_add_f64_e64 v[64:65], v[96:97], -v[92:93]
	;; [unrolled: 1-line block ×6, first 2 shown]
	v_add_f64_e32 v[48:49], v[90:91], v[94:95]
	v_add_f64_e64 v[50:51], v[86:87], -v[90:91]
	v_add_f64_e64 v[54:55], v[90:91], -v[86:87]
	;; [unrolled: 1-line block ×3, first 2 shown]
	v_add_f64_e32 v[56:57], v[84:85], v[96:97]
	v_add_f64_e64 v[78:79], v[84:85], -v[96:97]
	v_add_f64_e32 v[58:59], v[86:87], v[98:99]
	v_add_f64_e64 v[68:69], v[98:99], -v[94:95]
	v_add_f64_e64 v[70:71], v[94:95], -v[98:99]
	v_add_f64_e32 v[84:85], v[108:109], v[112:113]
	v_add_f64_e64 v[86:87], v[110:111], -v[114:115]
	v_add_f64_e64 v[120:121], v[116:117], -v[112:113]
	;; [unrolled: 1-line block ×3, first 2 shown]
	v_add_f64_e32 v[0:1], v[0:1], v[88:89]
	v_add_f64_e32 v[2:3], v[2:3], v[90:91]
	v_add_f64_e64 v[88:89], v[104:105], -v[108:109]
	v_add_f64_e64 v[90:91], v[108:109], -v[104:105]
	v_fma_f64 v[124:125], v[44:45], -0.5, v[32:33]
	v_fma_f64 v[128:129], v[48:49], -0.5, v[34:35]
	;; [unrolled: 1-line block ×5, first 2 shown]
	v_add_f64_e32 v[0:1], v[0:1], v[92:93]
	v_add_f64_e32 v[2:3], v[2:3], v[94:95]
	;; [unrolled: 1-line block ×3, first 2 shown]
	v_add_f64_e64 v[94:95], v[108:109], -v[112:113]
	v_add_f64_e32 v[88:89], v[88:89], v[120:121]
	v_add_f64_e32 v[80:81], v[0:1], v[96:97]
	;; [unrolled: 1-line block ×5, first 2 shown]
	v_add_f64_e64 v[96:97], v[106:107], -v[110:111]
	v_add_f64_e64 v[98:99], v[110:111], -v[106:107]
	v_fma_f64 v[92:93], v[92:93], -0.5, v[102:103]
	v_add_f64_e32 v[0:1], v[0:1], v[108:109]
	v_add_f64_e64 v[108:109], v[106:107], -v[118:119]
	v_add_f64_e32 v[2:3], v[2:3], v[110:111]
	v_add_f64_e32 v[110:111], v[104:105], v[116:117]
	v_add_f64_e64 v[104:105], v[104:105], -v[116:117]
	v_add_f64_e32 v[96:97], v[96:97], v[122:123]
	v_add_f64_e32 v[106:107], v[106:107], v[118:119]
	;; [unrolled: 1-line block ×3, first 2 shown]
	v_add_f64_e64 v[112:113], v[112:113], -v[116:117]
	v_add_f64_e32 v[2:3], v[2:3], v[114:115]
	v_add_f64_e64 v[114:115], v[114:115], -v[118:119]
	v_fma_f64 v[44:45], v[104:105], s[20:21], v[92:93]
	v_fma_f64 v[100:101], v[110:111], -0.5, v[100:101]
	v_fma_f64 v[102:103], v[106:107], -0.5, v[102:103]
	v_add_f64_e32 v[116:117], v[0:1], v[116:117]
	v_add_f64_e32 v[118:119], v[2:3], v[118:119]
	v_fma_f64 v[44:45], v[94:95], s[14:15], v[44:45]
	s_delay_alu instid0(VALU_DEP_3)
	v_add_f64_e32 v[0:1], v[80:81], v[116:117]
	v_add_f64_e64 v[32:33], v[80:81], -v[116:117]
	v_add_f64_e32 v[80:81], v[46:47], v[64:65]
	v_fma_f64 v[46:47], v[108:109], s[22:23], v[84:85]
	v_fma_f64 v[44:45], v[96:97], s[18:19], v[44:45]
	v_add_f64_e32 v[2:3], v[82:83], v[118:119]
	v_add_f64_e64 v[34:35], v[82:83], -v[118:119]
	v_add_f64_e32 v[82:83], v[50:51], v[68:69]
	v_add_f64_e32 v[64:65], v[52:53], v[66:67]
	v_fma_f64 v[52:53], v[94:95], s[22:23], v[102:103]
	v_add_f64_e32 v[66:67], v[54:55], v[70:71]
	v_add_f64_e32 v[70:71], v[98:99], v[114:115]
	v_fma_f64 v[54:55], v[86:87], s[20:21], v[100:101]
	v_add_f64_e32 v[68:69], v[90:91], v[112:113]
	v_fma_f64 v[84:85], v[108:109], s[20:21], v[84:85]
	v_fma_f64 v[46:47], v[86:87], s[16:17], v[46:47]
	v_mul_f64_e32 v[48:49], s[16:17], v[44:45]
	v_fma_f64 v[52:53], v[104:105], s[14:15], v[52:53]
	v_fma_f64 v[54:55], v[108:109], s[16:17], v[54:55]
	s_delay_alu instid0(VALU_DEP_4) | instskip(NEXT) | instid1(VALU_DEP_3)
	v_fma_f64 v[46:47], v[88:89], s[18:19], v[46:47]
	v_fma_f64 v[52:53], v[70:71], s[18:19], v[52:53]
	s_delay_alu instid0(VALU_DEP_3) | instskip(NEXT) | instid1(VALU_DEP_3)
	v_fma_f64 v[54:55], v[68:69], s[18:19], v[54:55]
	v_fma_f64 v[48:49], v[46:47], s[24:25], v[48:49]
	v_mul_f64_e32 v[46:47], s[14:15], v[46:47]
	s_delay_alu instid0(VALU_DEP_1) | instskip(SKIP_2) | instid1(VALU_DEP_2)
	v_fma_f64 v[50:51], v[44:45], s[24:25], v[46:47]
	v_fma_f64 v[44:45], v[76:77], s[22:23], v[124:125]
	;; [unrolled: 1-line block ×4, first 2 shown]
	s_delay_alu instid0(VALU_DEP_2) | instskip(NEXT) | instid1(VALU_DEP_2)
	v_fma_f64 v[46:47], v[74:75], s[14:15], v[46:47]
	v_fma_f64 v[56:57], v[80:81], s[18:19], v[44:45]
	s_delay_alu instid0(VALU_DEP_2) | instskip(NEXT) | instid1(VALU_DEP_2)
	v_fma_f64 v[58:59], v[82:83], s[18:19], v[46:47]
	v_add_f64_e32 v[44:45], v[56:57], v[48:49]
	v_add_f64_e64 v[48:49], v[56:57], -v[48:49]
	v_mul_f64_e32 v[56:57], s[22:23], v[52:53]
	v_mul_f64_e32 v[52:53], s[18:19], v[52:53]
	v_add_f64_e32 v[46:47], v[58:59], v[50:51]
	v_add_f64_e64 v[50:51], v[58:59], -v[50:51]
	s_delay_alu instid0(VALU_DEP_4) | instskip(NEXT) | instid1(VALU_DEP_4)
	v_fma_f64 v[56:57], v[54:55], s[18:19], v[56:57]
	v_fma_f64 v[58:59], v[54:55], s[20:21], v[52:53]
	;; [unrolled: 1-line block ×4, first 2 shown]
	s_delay_alu instid0(VALU_DEP_2) | instskip(NEXT) | instid1(VALU_DEP_2)
	v_fma_f64 v[52:53], v[76:77], s[16:17], v[52:53]
	v_fma_f64 v[54:55], v[78:79], s[14:15], v[54:55]
	s_delay_alu instid0(VALU_DEP_2) | instskip(NEXT) | instid1(VALU_DEP_2)
	v_fma_f64 v[90:91], v[64:65], s[18:19], v[52:53]
	v_fma_f64 v[98:99], v[66:67], s[18:19], v[54:55]
	s_delay_alu instid0(VALU_DEP_2) | instskip(SKIP_2) | instid1(VALU_DEP_4)
	v_add_f64_e32 v[52:53], v[90:91], v[56:57]
	v_add_f64_e64 v[56:57], v[90:91], -v[56:57]
	v_fma_f64 v[90:91], v[72:73], s[22:23], v[126:127]
	v_add_f64_e32 v[54:55], v[98:99], v[58:59]
	v_add_f64_e64 v[58:59], v[98:99], -v[58:59]
	s_delay_alu instid0(VALU_DEP_3) | instskip(SKIP_1) | instid1(VALU_DEP_2)
	v_fma_f64 v[90:91], v[76:77], s[14:15], v[90:91]
	v_fma_f64 v[76:77], v[76:77], s[20:21], v[124:125]
	v_fma_f64 v[90:91], v[64:65], s[18:19], v[90:91]
	v_fma_f64 v[64:65], v[74:75], s[20:21], v[130:131]
	s_delay_alu instid0(VALU_DEP_3) | instskip(SKIP_1) | instid1(VALU_DEP_3)
	v_fma_f64 v[72:73], v[72:73], s[14:15], v[76:77]
	v_fma_f64 v[76:77], v[86:87], s[14:15], v[84:85]
	;; [unrolled: 1-line block ×4, first 2 shown]
	s_delay_alu instid0(VALU_DEP_4) | instskip(NEXT) | instid1(VALU_DEP_4)
	v_fma_f64 v[80:81], v[80:81], s[18:19], v[72:73]
	v_fma_f64 v[72:73], v[88:89], s[18:19], v[76:77]
	s_delay_alu instid0(VALU_DEP_4) | instskip(SKIP_3) | instid1(VALU_DEP_3)
	v_fma_f64 v[98:99], v[66:67], s[18:19], v[64:65]
	v_fma_f64 v[64:65], v[94:95], s[20:21], v[102:103]
	;; [unrolled: 1-line block ×5, first 2 shown]
	s_delay_alu instid0(VALU_DEP_3) | instskip(NEXT) | instid1(VALU_DEP_3)
	v_fma_f64 v[66:67], v[108:109], s[14:15], v[66:67]
	v_fma_f64 v[82:83], v[82:83], s[18:19], v[74:75]
	s_delay_alu instid0(VALU_DEP_3) | instskip(NEXT) | instid1(VALU_DEP_3)
	v_fma_f64 v[64:65], v[70:71], s[18:19], v[64:65]
	v_fma_f64 v[66:67], v[68:69], s[18:19], v[66:67]
	s_delay_alu instid0(VALU_DEP_2) | instskip(SKIP_1) | instid1(VALU_DEP_2)
	v_mul_f64_e32 v[68:69], s[22:23], v[64:65]
	v_mul_f64_e32 v[64:65], s[26:27], v[64:65]
	v_fma_f64 v[68:69], v[66:67], s[26:27], v[68:69]
	s_delay_alu instid0(VALU_DEP_2) | instskip(NEXT) | instid1(VALU_DEP_2)
	v_fma_f64 v[70:71], v[66:67], s[20:21], v[64:65]
	v_add_f64_e32 v[64:65], v[90:91], v[68:69]
	v_add_f64_e64 v[68:69], v[90:91], -v[68:69]
	v_fma_f64 v[90:91], v[104:105], s[22:23], v[92:93]
	s_delay_alu instid0(VALU_DEP_4) | instskip(SKIP_1) | instid1(VALU_DEP_3)
	v_add_f64_e32 v[66:67], v[98:99], v[70:71]
	v_add_f64_e64 v[70:71], v[98:99], -v[70:71]
	v_fma_f64 v[90:91], v[94:95], s[16:17], v[90:91]
	s_delay_alu instid0(VALU_DEP_1) | instskip(NEXT) | instid1(VALU_DEP_1)
	v_fma_f64 v[78:79], v[96:97], s[18:19], v[90:91]
	v_mul_f64_e32 v[74:75], s[16:17], v[78:79]
	v_mul_f64_e32 v[76:77], s[28:29], v[78:79]
	s_delay_alu instid0(VALU_DEP_2) | instskip(NEXT) | instid1(VALU_DEP_2)
	v_fma_f64 v[78:79], v[72:73], s[28:29], v[74:75]
	v_fma_f64 v[84:85], v[72:73], s[14:15], v[76:77]
	s_delay_alu instid0(VALU_DEP_2) | instskip(NEXT) | instid1(VALU_DEP_2)
	v_add_f64_e32 v[72:73], v[80:81], v[78:79]
	v_add_f64_e32 v[74:75], v[82:83], v[84:85]
	v_add_f64_e64 v[76:77], v[80:81], -v[78:79]
	v_add_f64_e64 v[78:79], v[82:83], -v[84:85]
	ds_store_b128 v164, v[0:3]
	ds_store_b128 v164, v[44:47] offset:16
	ds_store_b128 v164, v[52:55] offset:32
	;; [unrolled: 1-line block ×9, first 2 shown]
	v_add_f64_e32 v[0:1], v[40:41], v[4:5]
	v_add_f64_e32 v[2:3], v[42:43], v[6:7]
	v_add_f64_e32 v[32:33], v[60:61], v[8:9]
	v_add_f64_e64 v[34:35], v[62:63], -v[10:11]
	v_add_f64_e64 v[44:45], v[4:5], -v[60:61]
	v_add_f64_e64 v[46:47], v[60:61], -v[4:5]
	v_add_f64_e32 v[48:49], v[62:63], v[10:11]
	v_add_f64_e64 v[50:51], v[60:61], -v[8:9]
	v_add_f64_e64 v[52:53], v[6:7], -v[62:63]
	;; [unrolled: 1-line block ×4, first 2 shown]
	v_add_f64_e32 v[58:59], v[4:5], v[12:13]
	v_add_f64_e64 v[64:65], v[8:9], -v[12:13]
	v_add_f64_e64 v[66:67], v[10:11], -v[14:15]
	v_add_f64_e32 v[72:73], v[18:19], v[26:27]
	v_add_f64_e64 v[80:81], v[20:21], -v[28:29]
	v_add_f64_e64 v[68:69], v[18:19], -v[26:27]
	v_add_f64_e64 v[70:71], v[16:17], -v[20:21]
	v_add_f64_e64 v[74:75], v[16:17], -v[24:25]
	v_add_f64_e64 v[76:77], v[22:23], -v[30:31]
	v_add_f64_e32 v[78:79], v[20:21], v[28:29]
	v_add_f64_e64 v[82:83], v[30:31], -v[26:27]
	v_add_f64_e32 v[0:1], v[0:1], v[60:61]
	v_add_f64_e32 v[2:3], v[2:3], v[62:63]
	v_add_f64_e64 v[60:61], v[4:5], -v[12:13]
	v_add_f64_e32 v[4:5], v[6:7], v[14:15]
	v_add_f64_e64 v[62:63], v[12:13], -v[8:9]
	v_fma_f64 v[32:33], v[32:33], -0.5, v[40:41]
	v_fma_f64 v[48:49], v[48:49], -0.5, v[42:43]
	;; [unrolled: 1-line block ×4, first 2 shown]
	v_add_f64_e32 v[0:1], v[0:1], v[8:9]
	v_add_f64_e32 v[2:3], v[2:3], v[10:11]
	v_add_f64_e64 v[8:9], v[14:15], -v[10:11]
	v_fma_f64 v[42:43], v[4:5], -0.5, v[42:43]
	v_add_f64_e32 v[44:45], v[44:45], v[62:63]
	v_add_f64_e32 v[6:7], v[0:1], v[12:13]
	;; [unrolled: 1-line block ×6, first 2 shown]
	v_add_f64_e64 v[14:15], v[20:21], -v[16:17]
	v_add_f64_e32 v[20:21], v[22:23], v[30:31]
	v_add_f64_e32 v[52:53], v[52:53], v[8:9]
	v_fma_f64 v[8:9], v[80:81], s[20:21], v[58:59]
	v_add_f64_e32 v[0:1], v[0:1], v[16:17]
	v_add_f64_e32 v[2:3], v[2:3], v[18:19]
	v_add_f64_e64 v[16:17], v[22:23], -v[18:19]
	v_add_f64_e64 v[18:19], v[18:19], -v[22:23]
	;; [unrolled: 1-line block ×3, first 2 shown]
	v_fma_f64 v[72:73], v[12:13], -0.5, v[36:37]
	v_fma_f64 v[36:37], v[78:79], -0.5, v[36:37]
	v_fma_f64 v[8:9], v[74:75], s[14:15], v[8:9]
	v_fma_f64 v[38:39], v[20:21], -0.5, v[38:39]
	v_add_f64_e32 v[0:1], v[0:1], v[24:25]
	v_add_f64_e32 v[2:3], v[2:3], v[26:27]
	v_add_f64_e64 v[24:25], v[24:25], -v[28:29]
	v_add_f64_e64 v[26:27], v[26:27], -v[30:31]
	v_add_f64_e32 v[78:79], v[16:17], v[82:83]
	v_add_f64_e32 v[62:63], v[14:15], v[22:23]
	;; [unrolled: 1-line block ×6, first 2 shown]
	v_fma_f64 v[8:9], v[78:79], s[18:19], v[8:9]
	v_fma_f64 v[18:19], v[68:69], s[20:21], v[36:37]
	;; [unrolled: 1-line block ×3, first 2 shown]
	v_add_f64_e32 v[0:1], v[6:7], v[28:29]
	v_add_f64_e32 v[2:3], v[10:11], v[30:31]
	v_add_f64_e64 v[4:5], v[6:7], -v[28:29]
	v_add_f64_e64 v[6:7], v[10:11], -v[30:31]
	v_fma_f64 v[10:11], v[76:77], s[22:23], v[72:73]
	v_mul_f64_e32 v[12:13], s[16:17], v[8:9]
	v_fma_f64 v[18:19], v[76:77], s[16:17], v[18:19]
	v_add_f64_e32 v[28:29], v[46:47], v[64:65]
	v_fma_f64 v[36:37], v[76:77], s[14:15], v[36:37]
	v_add_f64_e32 v[30:31], v[54:55], v[66:67]
	v_fma_f64 v[10:11], v[68:69], s[16:17], v[10:11]
	v_fma_f64 v[18:19], v[24:25], s[18:19], v[18:19]
	s_delay_alu instid0(VALU_DEP_4) | instskip(NEXT) | instid1(VALU_DEP_3)
	v_fma_f64 v[24:25], v[24:25], s[18:19], v[36:37]
	v_fma_f64 v[10:11], v[62:63], s[18:19], v[10:11]
	s_delay_alu instid0(VALU_DEP_1) | instskip(SKIP_1) | instid1(VALU_DEP_1)
	v_fma_f64 v[12:13], v[10:11], s[24:25], v[12:13]
	v_mul_f64_e32 v[10:11], s[14:15], v[10:11]
	v_fma_f64 v[14:15], v[8:9], s[24:25], v[10:11]
	v_fma_f64 v[8:9], v[56:57], s[22:23], v[32:33]
	;; [unrolled: 1-line block ×4, first 2 shown]
	s_delay_alu instid0(VALU_DEP_3) | instskip(NEXT) | instid1(VALU_DEP_3)
	v_fma_f64 v[8:9], v[34:35], s[16:17], v[8:9]
	v_fma_f64 v[10:11], v[50:51], s[14:15], v[10:11]
	s_delay_alu instid0(VALU_DEP_3) | instskip(NEXT) | instid1(VALU_DEP_3)
	v_fma_f64 v[32:33], v[34:35], s[14:15], v[32:33]
	v_fma_f64 v[16:17], v[44:45], s[18:19], v[8:9]
	s_delay_alu instid0(VALU_DEP_3) | instskip(NEXT) | instid1(VALU_DEP_2)
	v_fma_f64 v[20:21], v[52:53], s[18:19], v[10:11]
	v_add_f64_e32 v[8:9], v[16:17], v[12:13]
	v_add_f64_e64 v[12:13], v[16:17], -v[12:13]
	v_fma_f64 v[16:17], v[74:75], s[22:23], v[38:39]
	s_delay_alu instid0(VALU_DEP_4) | instskip(SKIP_2) | instid1(VALU_DEP_4)
	v_add_f64_e32 v[10:11], v[20:21], v[14:15]
	v_add_f64_e64 v[14:15], v[20:21], -v[14:15]
	v_fma_f64 v[38:39], v[74:75], s[20:21], v[38:39]
	v_fma_f64 v[16:17], v[80:81], s[14:15], v[16:17]
	s_delay_alu instid0(VALU_DEP_2) | instskip(NEXT) | instid1(VALU_DEP_2)
	v_fma_f64 v[38:39], v[80:81], s[16:17], v[38:39]
	v_fma_f64 v[16:17], v[26:27], s[18:19], v[16:17]
	s_delay_alu instid0(VALU_DEP_2) | instskip(NEXT) | instid1(VALU_DEP_2)
	v_fma_f64 v[26:27], v[26:27], s[18:19], v[38:39]
	v_mul_f64_e32 v[20:21], s[22:23], v[16:17]
	v_mul_f64_e32 v[16:17], s[18:19], v[16:17]
	s_delay_alu instid0(VALU_DEP_3) | instskip(SKIP_1) | instid1(VALU_DEP_4)
	v_mul_f64_e32 v[36:37], s[22:23], v[26:27]
	v_mul_f64_e32 v[26:27], s[26:27], v[26:27]
	v_fma_f64 v[20:21], v[18:19], s[18:19], v[20:21]
	s_delay_alu instid0(VALU_DEP_4)
	v_fma_f64 v[22:23], v[18:19], s[20:21], v[16:17]
	v_fma_f64 v[16:17], v[34:35], s[20:21], v[40:41]
	;; [unrolled: 1-line block ×9, first 2 shown]
	s_delay_alu instid0(VALU_DEP_3) | instskip(NEXT) | instid1(VALU_DEP_3)
	v_fma_f64 v[46:47], v[28:29], s[18:19], v[16:17]
	v_fma_f64 v[28:29], v[28:29], s[18:19], v[40:41]
	;; [unrolled: 1-line block ×3, first 2 shown]
	s_delay_alu instid0(VALU_DEP_4) | instskip(NEXT) | instid1(VALU_DEP_4)
	v_fma_f64 v[54:55], v[30:31], s[18:19], v[18:19]
	v_add_f64_e32 v[16:17], v[46:47], v[20:21]
	s_delay_alu instid0(VALU_DEP_4) | instskip(NEXT) | instid1(VALU_DEP_4)
	v_add_f64_e32 v[24:25], v[28:29], v[36:37]
	v_fma_f64 v[40:41], v[60:61], s[16:17], v[40:41]
	v_add_f64_e64 v[28:29], v[28:29], -v[36:37]
	v_fma_f64 v[36:37], v[80:81], s[22:23], v[58:59]
	v_add_f64_e32 v[18:19], v[54:55], v[22:23]
	v_add_f64_e64 v[20:21], v[46:47], -v[20:21]
	v_add_f64_e64 v[22:23], v[54:55], -v[22:23]
	v_fma_f64 v[30:31], v[30:31], s[18:19], v[40:41]
	v_fma_f64 v[40:41], v[76:77], s[20:21], v[72:73]
	;; [unrolled: 1-line block ×3, first 2 shown]
	s_delay_alu instid0(VALU_DEP_3) | instskip(SKIP_2) | instid1(VALU_DEP_4)
	v_add_f64_e32 v[26:27], v[30:31], v[38:39]
	v_add_f64_e64 v[30:31], v[30:31], -v[38:39]
	v_fma_f64 v[38:39], v[60:61], s[22:23], v[48:49]
	v_fma_f64 v[36:37], v[78:79], s[18:19], v[36:37]
	s_delay_alu instid0(VALU_DEP_2) | instskip(SKIP_2) | instid1(VALU_DEP_3)
	v_fma_f64 v[34:35], v[50:51], s[16:17], v[38:39]
	v_fma_f64 v[38:39], v[68:69], s[14:15], v[40:41]
	;; [unrolled: 1-line block ×4, first 2 shown]
	s_delay_alu instid0(VALU_DEP_3) | instskip(SKIP_2) | instid1(VALU_DEP_2)
	v_fma_f64 v[32:33], v[62:63], s[18:19], v[38:39]
	v_mul_f64_e32 v[34:35], s[16:17], v[36:37]
	v_mul_f64_e32 v[36:37], s[28:29], v[36:37]
	v_fma_f64 v[38:39], v[32:33], s[28:29], v[34:35]
	s_delay_alu instid0(VALU_DEP_2) | instskip(NEXT) | instid1(VALU_DEP_2)
	v_fma_f64 v[44:45], v[32:33], s[14:15], v[36:37]
	v_add_f64_e32 v[32:33], v[40:41], v[38:39]
	s_delay_alu instid0(VALU_DEP_2)
	v_add_f64_e32 v[34:35], v[42:43], v[44:45]
	v_add_f64_e64 v[36:37], v[40:41], -v[38:39]
	v_add_f64_e64 v[38:39], v[42:43], -v[44:45]
	ds_store_b128 v165, v[0:3]
	ds_store_b128 v165, v[8:11] offset:16
	ds_store_b128 v165, v[16:19] offset:32
	;; [unrolled: 1-line block ×9, first 2 shown]
	global_wb scope:SCOPE_SE
	s_wait_dscnt 0x0
	s_barrier_signal -1
	s_barrier_wait -1
	global_inv scope:SCOPE_SE
	s_clause 0x1
	scratch_load_b128 v[6:9], off, off offset:516 th:TH_LOAD_LU
	scratch_load_b128 v[12:15], off, off offset:644 th:TH_LOAD_LU
	ds_load_b128 v[0:3], v231 offset:7680
	s_clause 0x1
	scratch_load_b128 v[68:71], off, off offset:888 th:TH_LOAD_LU
	scratch_load_b128 v[74:77], off, off offset:904 th:TH_LOAD_LU
	s_wait_loadcnt_dscnt 0x300
	v_mul_f64_e32 v[4:5], v[8:9], v[2:3]
	s_delay_alu instid0(VALU_DEP_1) | instskip(SKIP_1) | instid1(VALU_DEP_1)
	v_fma_f64 v[82:83], v[6:7], v[0:1], v[4:5]
	v_mul_f64_e32 v[0:1], v[8:9], v[0:1]
	v_fma_f64 v[84:85], v[6:7], v[2:3], -v[0:1]
	scratch_load_b128 v[6:9], off, off offset:532 th:TH_LOAD_LU ; 16-byte Folded Reload
	ds_load_b128 v[0:3], v231 offset:15360
	s_wait_loadcnt_dscnt 0x0
	v_mul_f64_e32 v[4:5], v[8:9], v[2:3]
	s_delay_alu instid0(VALU_DEP_1) | instskip(SKIP_1) | instid1(VALU_DEP_1)
	v_fma_f64 v[86:87], v[6:7], v[0:1], v[4:5]
	v_mul_f64_e32 v[0:1], v[8:9], v[0:1]
	v_fma_f64 v[88:89], v[6:7], v[2:3], -v[0:1]
	scratch_load_b128 v[6:9], off, off offset:548 th:TH_LOAD_LU ; 16-byte Folded Reload
	ds_load_b128 v[0:3], v231 offset:23040
	;; [unrolled: 8-line block ×7, first 2 shown]
	s_wait_loadcnt_dscnt 0x0
	v_mul_f64_e32 v[4:5], v[8:9], v[2:3]
	s_delay_alu instid0(VALU_DEP_1) | instskip(SKIP_1) | instid1(VALU_DEP_1)
	v_fma_f64 v[96:97], v[6:7], v[0:1], v[4:5]
	v_mul_f64_e32 v[0:1], v[8:9], v[0:1]
	v_fma_f64 v[8:9], v[6:7], v[2:3], -v[0:1]
	ds_load_b128 v[0:3], v231 offset:32256
	s_wait_dscnt 0x0
	v_mul_f64_e32 v[4:5], v[14:15], v[2:3]
	s_delay_alu instid0(VALU_DEP_1) | instskip(SKIP_1) | instid1(VALU_DEP_1)
	v_fma_f64 v[6:7], v[12:13], v[0:1], v[4:5]
	v_mul_f64_e32 v[0:1], v[14:15], v[0:1]
	v_fma_f64 v[94:95], v[12:13], v[2:3], -v[0:1]
	scratch_load_b128 v[12:15], off, off offset:660 th:TH_LOAD_LU ; 16-byte Folded Reload
	ds_load_b128 v[0:3], v231 offset:39936
	s_wait_loadcnt_dscnt 0x0
	v_mul_f64_e32 v[4:5], v[14:15], v[2:3]
	s_delay_alu instid0(VALU_DEP_1)
	v_fma_f64 v[92:93], v[12:13], v[0:1], v[4:5]
	v_mul_f64_e32 v[0:1], v[14:15], v[0:1]
	scratch_load_b128 v[14:17], off, off offset:676 th:TH_LOAD_LU ; 16-byte Folded Reload
	v_fma_f64 v[4:5], v[12:13], v[2:3], -v[0:1]
	ds_load_b128 v[0:3], v231 offset:10752
	s_wait_loadcnt_dscnt 0x0
	v_mul_f64_e32 v[12:13], v[16:17], v[2:3]
	s_delay_alu instid0(VALU_DEP_1) | instskip(SKIP_1) | instid1(VALU_DEP_1)
	v_fma_f64 v[62:63], v[14:15], v[0:1], v[12:13]
	v_mul_f64_e32 v[0:1], v[16:17], v[0:1]
	v_fma_f64 v[60:61], v[14:15], v[2:3], -v[0:1]
	scratch_load_b128 v[14:17], off, off offset:692 th:TH_LOAD_LU ; 16-byte Folded Reload
	ds_load_b128 v[0:3], v231 offset:18432
	s_wait_loadcnt_dscnt 0x0
	v_mul_f64_e32 v[12:13], v[16:17], v[2:3]
	s_delay_alu instid0(VALU_DEP_1) | instskip(SKIP_1) | instid1(VALU_DEP_1)
	v_fma_f64 v[48:49], v[14:15], v[0:1], v[12:13]
	v_mul_f64_e32 v[0:1], v[16:17], v[0:1]
	v_fma_f64 v[50:51], v[14:15], v[2:3], -v[0:1]
	scratch_load_b128 v[14:17], off, off offset:708 th:TH_LOAD_LU ; 16-byte Folded Reload
	;; [unrolled: 8-line block ×3, first 2 shown]
	ds_load_b128 v[0:3], v231 offset:33792
	s_wait_loadcnt_dscnt 0x0
	v_mul_f64_e32 v[12:13], v[16:17], v[2:3]
	s_delay_alu instid0(VALU_DEP_1)
	v_fma_f64 v[56:57], v[14:15], v[0:1], v[12:13]
	v_mul_f64_e32 v[0:1], v[16:17], v[0:1]
	scratch_load_b128 v[16:19], off, off offset:740 th:TH_LOAD_LU ; 16-byte Folded Reload
	v_fma_f64 v[58:59], v[14:15], v[2:3], -v[0:1]
	ds_load_b128 v[12:15], v231 offset:41472
	s_wait_loadcnt_dscnt 0x0
	v_mul_f64_e32 v[0:1], v[18:19], v[14:15]
	s_delay_alu instid0(VALU_DEP_1)
	v_fma_f64 v[2:3], v[16:17], v[12:13], v[0:1]
	v_mul_f64_e32 v[0:1], v[18:19], v[12:13]
	scratch_load_b128 v[18:21], off, off offset:756 th:TH_LOAD_LU ; 16-byte Folded Reload
	v_fma_f64 v[12:13], v[16:17], v[14:15], -v[0:1]
	ds_load_b128 v[14:17], v231 offset:12288
	s_wait_loadcnt_dscnt 0x0
	v_mul_f64_e32 v[0:1], v[20:21], v[16:17]
	s_delay_alu instid0(VALU_DEP_1) | instskip(SKIP_1) | instid1(VALU_DEP_1)
	v_fma_f64 v[66:67], v[18:19], v[14:15], v[0:1]
	v_mul_f64_e32 v[0:1], v[20:21], v[14:15]
	v_fma_f64 v[64:65], v[18:19], v[16:17], -v[0:1]
	scratch_load_b128 v[18:21], off, off offset:772 th:TH_LOAD_LU ; 16-byte Folded Reload
	ds_load_b128 v[14:17], v231 offset:19968
	s_wait_loadcnt_dscnt 0x0
	v_mul_f64_e32 v[0:1], v[20:21], v[16:17]
	s_delay_alu instid0(VALU_DEP_1) | instskip(SKIP_1) | instid1(VALU_DEP_1)
	v_fma_f64 v[28:29], v[18:19], v[14:15], v[0:1]
	v_mul_f64_e32 v[0:1], v[20:21], v[14:15]
	v_fma_f64 v[30:31], v[18:19], v[16:17], -v[0:1]
	scratch_load_b128 v[18:21], off, off offset:788 th:TH_LOAD_LU ; 16-byte Folded Reload
	;; [unrolled: 8-line block ×5, first 2 shown]
	ds_load_b128 v[14:17], v231 offset:13824
	s_wait_loadcnt_dscnt 0x0
	v_mul_f64_e32 v[0:1], v[20:21], v[16:17]
	s_delay_alu instid0(VALU_DEP_1)
	v_fma_f64 v[0:1], v[18:19], v[14:15], v[0:1]
	v_mul_f64_e32 v[14:15], v[20:21], v[14:15]
	scratch_load_b128 v[20:23], off, off offset:856 th:TH_LOAD_LU ; 16-byte Folded Reload
	v_fma_f64 v[72:73], v[18:19], v[16:17], -v[14:15]
	ds_load_b128 v[14:17], v231 offset:21504
	s_wait_loadcnt_dscnt 0x0
	v_mul_f64_e32 v[18:19], v[22:23], v[16:17]
	s_delay_alu instid0(VALU_DEP_1) | instskip(SKIP_1) | instid1(VALU_DEP_1)
	v_fma_f64 v[44:45], v[20:21], v[14:15], v[18:19]
	v_mul_f64_e32 v[14:15], v[22:23], v[14:15]
	v_fma_f64 v[26:27], v[20:21], v[16:17], -v[14:15]
	scratch_load_b128 v[20:23], off, off offset:872 th:TH_LOAD_LU ; 16-byte Folded Reload
	ds_load_b128 v[16:19], v231 offset:29184
	s_wait_loadcnt_dscnt 0x0
	v_mul_f64_e32 v[14:15], v[22:23], v[18:19]
	s_delay_alu instid0(VALU_DEP_1) | instskip(SKIP_1) | instid1(VALU_DEP_1)
	v_fma_f64 v[14:15], v[20:21], v[16:17], v[14:15]
	v_mul_f64_e32 v[16:17], v[22:23], v[16:17]
	v_fma_f64 v[24:25], v[20:21], v[18:19], -v[16:17]
	ds_load_b128 v[18:21], v231 offset:36864
	s_wait_dscnt 0x0
	v_mul_f64_e32 v[16:17], v[70:71], v[20:21]
	s_delay_alu instid0(VALU_DEP_1) | instskip(SKIP_1) | instid1(VALU_DEP_1)
	v_fma_f64 v[16:17], v[68:69], v[18:19], v[16:17]
	v_mul_f64_e32 v[18:19], v[70:71], v[18:19]
	v_fma_f64 v[18:19], v[68:69], v[20:21], -v[18:19]
	ds_load_b128 v[68:71], v231 offset:44544
	s_wait_dscnt 0x0
	v_mul_f64_e32 v[20:21], v[76:77], v[70:71]
	s_delay_alu instid0(VALU_DEP_1) | instskip(SKIP_1) | instid1(VALU_DEP_1)
	v_fma_f64 v[22:23], v[74:75], v[68:69], v[20:21]
	v_mul_f64_e32 v[20:21], v[76:77], v[68:69]
	v_fma_f64 v[20:21], v[74:75], v[70:71], -v[20:21]
	v_add_f64_e32 v[74:75], v[86:87], v[104:105]
	ds_load_b128 v[68:71], v231
	s_wait_dscnt 0x0
	v_fma_f64 v[112:113], v[74:75], -0.5, v[68:69]
	v_add_f64_e32 v[74:75], v[88:89], v[106:107]
	v_add_f64_e32 v[68:69], v[68:69], v[86:87]
	s_delay_alu instid0(VALU_DEP_2) | instskip(SKIP_2) | instid1(VALU_DEP_4)
	v_fma_f64 v[114:115], v[74:75], -0.5, v[70:71]
	v_add_f64_e32 v[74:75], v[82:83], v[90:91]
	v_add_f64_e32 v[70:71], v[70:71], v[88:89]
	;; [unrolled: 1-line block ×3, first 2 shown]
	v_add_f64_e64 v[104:105], v[86:87], -v[104:105]
	s_delay_alu instid0(VALU_DEP_4) | instskip(SKIP_3) | instid1(VALU_DEP_3)
	v_add_f64_e32 v[78:79], v[74:75], v[108:109]
	v_add_f64_e32 v[74:75], v[84:85], v[102:103]
	;; [unrolled: 1-line block ×3, first 2 shown]
	v_add_f64_e64 v[106:107], v[88:89], -v[106:107]
	v_add_f64_e32 v[80:81], v[74:75], v[110:111]
	v_add_f64_e32 v[74:75], v[68:69], v[78:79]
	v_add_f64_e64 v[78:79], v[68:69], -v[78:79]
	v_add_f64_e32 v[68:69], v[90:91], v[108:109]
	s_delay_alu instid0(VALU_DEP_4)
	v_add_f64_e32 v[76:77], v[70:71], v[80:81]
	v_add_f64_e64 v[80:81], v[70:71], -v[80:81]
	v_add_f64_e64 v[70:71], v[90:91], -v[108:109]
	v_add_f64_e32 v[90:91], v[102:103], v[110:111]
	v_add_f64_e64 v[102:103], v[102:103], -v[110:111]
	v_fma_f64 v[68:69], v[68:69], -0.5, v[82:83]
	v_fma_f64 v[110:111], v[104:105], s[2:3], v[114:115]
	s_delay_alu instid0(VALU_DEP_4) | instskip(NEXT) | instid1(VALU_DEP_3)
	v_fma_f64 v[90:91], v[90:91], -0.5, v[84:85]
	v_fma_f64 v[86:87], v[102:103], s[12:13], v[68:69]
	v_fma_f64 v[68:69], v[102:103], s[2:3], v[68:69]
	s_delay_alu instid0(VALU_DEP_3) | instskip(SKIP_2) | instid1(VALU_DEP_3)
	v_fma_f64 v[82:83], v[70:71], s[2:3], v[90:91]
	v_fma_f64 v[70:71], v[70:71], s[12:13], v[90:91]
	;; [unrolled: 1-line block ×3, first 2 shown]
	v_mul_f64_e32 v[84:85], s[12:13], v[82:83]
	v_mul_f64_e32 v[82:83], 0.5, v[82:83]
	s_delay_alu instid0(VALU_DEP_4) | instskip(SKIP_1) | instid1(VALU_DEP_4)
	v_mul_f64_e32 v[102:103], s[12:13], v[70:71]
	v_mul_f64_e32 v[70:71], -0.5, v[70:71]
	v_fma_f64 v[88:89], v[86:87], 0.5, v[84:85]
	s_delay_alu instid0(VALU_DEP_4) | instskip(SKIP_3) | instid1(VALU_DEP_4)
	v_fma_f64 v[108:109], v[86:87], s[2:3], v[82:83]
	v_fma_f64 v[86:87], v[106:107], s[12:13], v[112:113]
	v_fma_f64 v[106:107], v[68:69], -0.5, v[102:103]
	v_fma_f64 v[68:69], v[68:69], s[2:3], v[70:71]
	v_add_f64_e32 v[84:85], v[110:111], v[108:109]
	s_delay_alu instid0(VALU_DEP_4)
	v_add_f64_e32 v[82:83], v[86:87], v[88:89]
	v_add_f64_e64 v[86:87], v[86:87], -v[88:89]
	v_add_f64_e64 v[88:89], v[110:111], -v[108:109]
	v_fma_f64 v[108:109], v[104:105], s[12:13], v[114:115]
	v_add_f64_e32 v[102:103], v[90:91], v[106:107]
	v_add_f64_e64 v[106:107], v[90:91], -v[106:107]
	s_delay_alu instid0(VALU_DEP_3)
	v_add_f64_e32 v[104:105], v[108:109], v[68:69]
	v_add_f64_e64 v[108:109], v[108:109], -v[68:69]
	ds_load_b128 v[68:71], v231 offset:6144
	ds_load_b128 v[110:113], v231 offset:1536
	;; [unrolled: 1-line block ×4, first 2 shown]
	global_wb scope:SCOPE_SE
	s_wait_dscnt 0x0
	s_barrier_signal -1
	s_barrier_wait -1
	global_inv scope:SCOPE_SE
	scratch_load_b32 v90, off, off offset:1148 th:TH_LOAD_LU ; 4-byte Folded Reload
	s_wait_loadcnt 0x0
	ds_store_b128 v90, v[74:77]
	ds_store_b128 v90, v[78:81] offset:480
	ds_store_b128 v90, v[82:85] offset:160
	;; [unrolled: 1-line block ×5, first 2 shown]
	v_add_f64_e32 v[74:75], v[10:11], v[6:7]
	v_add_f64_e32 v[76:77], v[112:113], v[98:99]
	;; [unrolled: 1-line block ×3, first 2 shown]
	s_delay_alu instid0(VALU_DEP_3) | instskip(SKIP_1) | instid1(VALU_DEP_4)
	v_fma_f64 v[82:83], v[74:75], -0.5, v[110:111]
	v_add_f64_e32 v[74:75], v[98:99], v[94:95]
	v_add_f64_e32 v[80:81], v[76:77], v[94:95]
	s_delay_alu instid0(VALU_DEP_4) | instskip(NEXT) | instid1(VALU_DEP_3)
	v_fma_f64 v[90:91], v[90:91], -0.5, v[100:101]
	v_fma_f64 v[84:85], v[74:75], -0.5, v[112:113]
	v_add_f64_e32 v[74:75], v[110:111], v[10:11]
	s_delay_alu instid0(VALU_DEP_1) | instskip(SKIP_1) | instid1(VALU_DEP_1)
	v_add_f64_e32 v[78:79], v[74:75], v[6:7]
	v_add_f64_e32 v[74:75], v[46:47], v[96:97]
	;; [unrolled: 1-line block ×4, first 2 shown]
	s_delay_alu instid0(VALU_DEP_1) | instskip(NEXT) | instid1(VALU_DEP_3)
	v_add_f64_e32 v[88:89], v[74:75], v[4:5]
	v_add_f64_e32 v[74:75], v[78:79], v[86:87]
	v_add_f64_e64 v[78:79], v[78:79], -v[86:87]
	v_add_f64_e32 v[86:87], v[96:97], v[92:93]
	s_delay_alu instid0(VALU_DEP_4)
	v_add_f64_e32 v[76:77], v[80:81], v[88:89]
	v_add_f64_e64 v[80:81], v[80:81], -v[88:89]
	v_add_f64_e64 v[88:89], v[96:97], -v[92:93]
	;; [unrolled: 1-line block ×3, first 2 shown]
	v_fma_f64 v[46:47], v[86:87], -0.5, v[46:47]
	v_add_f64_e64 v[92:93], v[98:99], -v[94:95]
	v_add_f64_e64 v[94:95], v[10:11], -v[6:7]
	v_fma_f64 v[4:5], v[88:89], s[2:3], v[90:91]
	s_delay_alu instid0(VALU_DEP_4) | instskip(SKIP_1) | instid1(VALU_DEP_4)
	v_fma_f64 v[8:9], v[96:97], s[12:13], v[46:47]
	v_fma_f64 v[46:47], v[96:97], s[2:3], v[46:47]
	v_fma_f64 v[98:99], v[94:95], s[2:3], v[84:85]
	s_delay_alu instid0(VALU_DEP_4) | instskip(SKIP_1) | instid1(VALU_DEP_2)
	v_mul_f64_e32 v[6:7], s[12:13], v[4:5]
	v_mul_f64_e32 v[4:5], 0.5, v[4:5]
	v_fma_f64 v[10:11], v[8:9], 0.5, v[6:7]
	s_delay_alu instid0(VALU_DEP_2) | instskip(SKIP_1) | instid1(VALU_DEP_2)
	v_fma_f64 v[86:87], v[8:9], s[2:3], v[4:5]
	v_fma_f64 v[8:9], v[92:93], s[12:13], v[82:83]
	v_add_f64_e32 v[6:7], v[98:99], v[86:87]
	s_delay_alu instid0(VALU_DEP_2)
	v_add_f64_e32 v[4:5], v[8:9], v[10:11]
	v_add_f64_e64 v[8:9], v[8:9], -v[10:11]
	v_add_f64_e64 v[10:11], v[98:99], -v[86:87]
	v_fma_f64 v[86:87], v[88:89], s[12:13], v[90:91]
	v_fma_f64 v[88:89], v[92:93], s[2:3], v[82:83]
	;; [unrolled: 1-line block ×3, first 2 shown]
	s_delay_alu instid0(VALU_DEP_3) | instskip(SKIP_1) | instid1(VALU_DEP_2)
	v_mul_f64_e32 v[82:83], s[12:13], v[86:87]
	v_mul_f64_e32 v[84:85], -0.5, v[86:87]
	v_fma_f64 v[86:87], v[46:47], -0.5, v[82:83]
	s_delay_alu instid0(VALU_DEP_2) | instskip(NEXT) | instid1(VALU_DEP_2)
	v_fma_f64 v[46:47], v[46:47], s[2:3], v[84:85]
	v_add_f64_e32 v[82:83], v[88:89], v[86:87]
	s_delay_alu instid0(VALU_DEP_2)
	v_add_f64_e32 v[84:85], v[90:91], v[46:47]
	v_add_f64_e64 v[86:87], v[88:89], -v[86:87]
	v_add_f64_e64 v[88:89], v[90:91], -v[46:47]
	ds_store_b128 v183, v[74:77]
	ds_store_b128 v183, v[4:7] offset:160
	ds_store_b128 v183, v[82:85] offset:320
	;; [unrolled: 1-line block ×5, first 2 shown]
	v_add_f64_e32 v[4:5], v[48:49], v[56:57]
	scratch_load_b32 v183, off, off offset:1252 th:TH_LOAD_LU ; 4-byte Folded Reload
	v_add_f64_e32 v[6:7], v[116:117], v[50:51]
	v_fma_f64 v[74:75], v[4:5], -0.5, v[114:115]
	v_add_f64_e32 v[4:5], v[50:51], v[58:59]
	s_delay_alu instid0(VALU_DEP_3) | instskip(SKIP_1) | instid1(VALU_DEP_3)
	v_add_f64_e32 v[10:11], v[6:7], v[58:59]
	v_add_f64_e64 v[58:59], v[50:51], -v[58:59]
	v_fma_f64 v[76:77], v[4:5], -0.5, v[116:117]
	v_add_f64_e32 v[4:5], v[114:115], v[48:49]
	s_delay_alu instid0(VALU_DEP_1) | instskip(SKIP_2) | instid1(VALU_DEP_2)
	v_add_f64_e32 v[8:9], v[4:5], v[56:57]
	v_add_f64_e32 v[4:5], v[62:63], v[54:55]
	v_add_f64_e64 v[56:57], v[48:49], -v[56:57]
	v_add_f64_e32 v[46:47], v[4:5], v[2:3]
	v_add_f64_e32 v[4:5], v[60:61], v[52:53]
	s_delay_alu instid0(VALU_DEP_1) | instskip(NEXT) | instid1(VALU_DEP_3)
	v_add_f64_e32 v[78:79], v[4:5], v[12:13]
	v_add_f64_e32 v[4:5], v[8:9], v[46:47]
	v_add_f64_e64 v[8:9], v[8:9], -v[46:47]
	v_add_f64_e32 v[46:47], v[54:55], v[2:3]
	v_add_f64_e64 v[2:3], v[54:55], -v[2:3]
	;; [unrolled: 2-line block ×4, first 2 shown]
	v_fma_f64 v[78:79], v[56:57], s[2:3], v[76:77]
	v_fma_f64 v[54:55], v[54:55], -0.5, v[60:61]
	v_fma_f64 v[60:61], v[46:47], -0.5, v[62:63]
	s_delay_alu instid0(VALU_DEP_2) | instskip(NEXT) | instid1(VALU_DEP_2)
	v_fma_f64 v[46:47], v[2:3], s[2:3], v[54:55]
	v_fma_f64 v[50:51], v[12:13], s[12:13], v[60:61]
	;; [unrolled: 1-line block ×4, first 2 shown]
	s_delay_alu instid0(VALU_DEP_4) | instskip(SKIP_1) | instid1(VALU_DEP_4)
	v_mul_f64_e32 v[48:49], s[12:13], v[46:47]
	v_mul_f64_e32 v[46:47], 0.5, v[46:47]
	v_mul_f64_e32 v[54:55], s[12:13], v[2:3]
	v_mul_f64_e32 v[2:3], -0.5, v[2:3]
	s_delay_alu instid0(VALU_DEP_4) | instskip(NEXT) | instid1(VALU_DEP_4)
	v_fma_f64 v[52:53], v[50:51], 0.5, v[48:49]
	v_fma_f64 v[62:63], v[50:51], s[2:3], v[46:47]
	v_fma_f64 v[50:51], v[58:59], s[12:13], v[74:75]
	;; [unrolled: 1-line block ×3, first 2 shown]
	v_fma_f64 v[60:61], v[12:13], -0.5, v[54:55]
	v_fma_f64 v[2:3], v[12:13], s[2:3], v[2:3]
	v_add_f64_e32 v[48:49], v[78:79], v[62:63]
	v_add_f64_e32 v[46:47], v[50:51], v[52:53]
	v_add_f64_e64 v[50:51], v[50:51], -v[52:53]
	v_add_f64_e64 v[52:53], v[78:79], -v[62:63]
	v_fma_f64 v[62:63], v[56:57], s[12:13], v[76:77]
	v_add_f64_e32 v[54:55], v[58:59], v[60:61]
	v_add_f64_e64 v[58:59], v[58:59], -v[60:61]
	s_delay_alu instid0(VALU_DEP_3)
	v_add_f64_e32 v[56:57], v[62:63], v[2:3]
	v_add_f64_e64 v[60:61], v[62:63], -v[2:3]
	v_add_f64_e32 v[2:3], v[28:29], v[36:37]
	s_wait_loadcnt 0x0
	ds_store_b128 v183, v[4:7]
	ds_store_b128 v183, v[46:49] offset:160
	ds_store_b128 v183, v[54:57] offset:320
	;; [unrolled: 1-line block ×5, first 2 shown]
	scratch_load_b32 v183, off, off offset:1000 th:TH_LOAD_LU ; 4-byte Folded Reload
	v_add_f64_e32 v[4:5], v[120:121], v[30:31]
	v_fma_f64 v[46:47], v[2:3], -0.5, v[118:119]
	v_add_f64_e32 v[2:3], v[30:31], v[38:39]
	s_delay_alu instid0(VALU_DEP_3) | instskip(SKIP_1) | instid1(VALU_DEP_3)
	v_add_f64_e32 v[8:9], v[4:5], v[38:39]
	v_add_f64_e64 v[38:39], v[30:31], -v[38:39]
	v_fma_f64 v[48:49], v[2:3], -0.5, v[120:121]
	v_add_f64_e32 v[2:3], v[118:119], v[28:29]
	s_delay_alu instid0(VALU_DEP_1) | instskip(SKIP_2) | instid1(VALU_DEP_2)
	v_add_f64_e32 v[6:7], v[2:3], v[36:37]
	v_add_f64_e32 v[2:3], v[66:67], v[34:35]
	v_add_f64_e64 v[36:37], v[28:29], -v[36:37]
	v_add_f64_e32 v[10:11], v[2:3], v[42:43]
	v_add_f64_e32 v[2:3], v[64:65], v[32:33]
	s_delay_alu instid0(VALU_DEP_3) | instskip(NEXT) | instid1(VALU_DEP_2)
	v_fma_f64 v[52:53], v[36:37], s[2:3], v[48:49]
	v_add_f64_e32 v[12:13], v[2:3], v[40:41]
	s_delay_alu instid0(VALU_DEP_4)
	v_add_f64_e32 v[2:3], v[6:7], v[10:11]
	v_add_f64_e64 v[6:7], v[6:7], -v[10:11]
	v_add_f64_e32 v[10:11], v[34:35], v[42:43]
	v_add_f64_e64 v[34:35], v[34:35], -v[42:43]
	;; [unrolled: 2-line block ×4, first 2 shown]
	v_fma_f64 v[40:41], v[10:11], -0.5, v[66:67]
	s_delay_alu instid0(VALU_DEP_3) | instskip(NEXT) | instid1(VALU_DEP_2)
	v_fma_f64 v[42:43], v[12:13], -0.5, v[64:65]
	v_fma_f64 v[28:29], v[32:33], s[12:13], v[40:41]
	v_fma_f64 v[32:33], v[32:33], s[2:3], v[40:41]
	s_delay_alu instid0(VALU_DEP_3) | instskip(SKIP_2) | instid1(VALU_DEP_3)
	v_fma_f64 v[10:11], v[34:35], s[2:3], v[42:43]
	v_fma_f64 v[34:35], v[34:35], s[12:13], v[42:43]
	;; [unrolled: 1-line block ×3, first 2 shown]
	v_mul_f64_e32 v[12:13], s[12:13], v[10:11]
	v_mul_f64_e32 v[10:11], 0.5, v[10:11]
	s_delay_alu instid0(VALU_DEP_4) | instskip(SKIP_1) | instid1(VALU_DEP_4)
	v_mul_f64_e32 v[36:37], s[12:13], v[34:35]
	v_mul_f64_e32 v[34:35], -0.5, v[34:35]
	v_fma_f64 v[30:31], v[28:29], 0.5, v[12:13]
	s_delay_alu instid0(VALU_DEP_4)
	v_fma_f64 v[50:51], v[28:29], s[2:3], v[10:11]
	v_fma_f64 v[28:29], v[38:39], s[12:13], v[46:47]
	;; [unrolled: 1-line block ×3, first 2 shown]
	v_fma_f64 v[36:37], v[32:33], -0.5, v[36:37]
	v_fma_f64 v[40:41], v[32:33], s[2:3], v[34:35]
	v_add_f64_e32 v[12:13], v[52:53], v[50:51]
	v_add_f64_e32 v[10:11], v[28:29], v[30:31]
	v_add_f64_e64 v[28:29], v[28:29], -v[30:31]
	v_add_f64_e32 v[32:33], v[38:39], v[36:37]
	v_add_f64_e32 v[34:35], v[42:43], v[40:41]
	v_add_f64_e64 v[30:31], v[52:53], -v[50:51]
	v_add_f64_e64 v[36:37], v[38:39], -v[36:37]
	;; [unrolled: 1-line block ×3, first 2 shown]
	s_wait_loadcnt 0x0
	ds_store_b128 v183, v[2:5]
	ds_store_b128 v183, v[10:13] offset:160
	ds_store_b128 v183, v[32:35] offset:320
	;; [unrolled: 1-line block ×5, first 2 shown]
	v_add_f64_e32 v[2:3], v[44:45], v[16:17]
	v_add_f64_e32 v[4:5], v[70:71], v[26:27]
	scratch_load_b32 v183, off, off offset:1248 th:TH_LOAD_LU ; 4-byte Folded Reload
	v_fma_f64 v[28:29], v[2:3], -0.5, v[68:69]
	v_add_f64_e32 v[2:3], v[26:27], v[18:19]
	v_add_f64_e32 v[8:9], v[4:5], v[18:19]
	v_add_f64_e64 v[18:19], v[26:27], -v[18:19]
	v_add_f64_e64 v[26:27], v[44:45], -v[16:17]
	s_delay_alu instid0(VALU_DEP_4) | instskip(SKIP_1) | instid1(VALU_DEP_2)
	v_fma_f64 v[30:31], v[2:3], -0.5, v[70:71]
	v_add_f64_e32 v[2:3], v[68:69], v[44:45]
	v_fma_f64 v[34:35], v[26:27], s[2:3], v[30:31]
	s_delay_alu instid0(VALU_DEP_2) | instskip(SKIP_2) | instid1(VALU_DEP_2)
	v_add_f64_e32 v[6:7], v[2:3], v[16:17]
	v_add_f64_e32 v[2:3], v[0:1], v[14:15]
	v_fma_f64 v[26:27], v[26:27], s[12:13], v[30:31]
	v_add_f64_e32 v[10:11], v[2:3], v[22:23]
	v_add_f64_e32 v[2:3], v[72:73], v[24:25]
	s_delay_alu instid0(VALU_DEP_1) | instskip(NEXT) | instid1(VALU_DEP_3)
	v_add_f64_e32 v[12:13], v[2:3], v[20:21]
	v_add_f64_e32 v[2:3], v[6:7], v[10:11]
	v_add_f64_e64 v[6:7], v[6:7], -v[10:11]
	v_add_f64_e32 v[10:11], v[14:15], v[22:23]
	v_add_f64_e64 v[22:23], v[14:15], -v[22:23]
	;; [unrolled: 2-line block ×4, first 2 shown]
	v_fma_f64 v[0:1], v[10:11], -0.5, v[0:1]
	s_delay_alu instid0(VALU_DEP_3) | instskip(NEXT) | instid1(VALU_DEP_2)
	v_fma_f64 v[32:33], v[12:13], -0.5, v[72:73]
	v_fma_f64 v[14:15], v[20:21], s[12:13], v[0:1]
	v_fma_f64 v[0:1], v[20:21], s[2:3], v[0:1]
	s_delay_alu instid0(VALU_DEP_3) | instskip(SKIP_1) | instid1(VALU_DEP_2)
	v_fma_f64 v[10:11], v[22:23], s[2:3], v[32:33]
	v_fma_f64 v[22:23], v[22:23], s[12:13], v[32:33]
	v_mul_f64_e32 v[12:13], s[12:13], v[10:11]
	v_mul_f64_e32 v[10:11], 0.5, v[10:11]
	s_delay_alu instid0(VALU_DEP_3) | instskip(NEXT) | instid1(VALU_DEP_3)
	v_mul_f64_e32 v[20:21], -0.5, v[22:23]
	v_fma_f64 v[16:17], v[14:15], 0.5, v[12:13]
	s_delay_alu instid0(VALU_DEP_3) | instskip(SKIP_1) | instid1(VALU_DEP_2)
	v_fma_f64 v[24:25], v[14:15], s[2:3], v[10:11]
	v_fma_f64 v[14:15], v[18:19], s[12:13], v[28:29]
	v_add_f64_e32 v[12:13], v[34:35], v[24:25]
	s_delay_alu instid0(VALU_DEP_2) | instskip(SKIP_4) | instid1(VALU_DEP_1)
	v_add_f64_e32 v[10:11], v[14:15], v[16:17]
	v_add_f64_e64 v[14:15], v[14:15], -v[16:17]
	v_add_f64_e64 v[16:17], v[34:35], -v[24:25]
	v_fma_f64 v[24:25], v[18:19], s[2:3], v[28:29]
	v_mul_f64_e32 v[18:19], s[12:13], v[22:23]
	v_fma_f64 v[22:23], v[0:1], -0.5, v[18:19]
	v_fma_f64 v[0:1], v[0:1], s[2:3], v[20:21]
	s_delay_alu instid0(VALU_DEP_2) | instskip(NEXT) | instid1(VALU_DEP_2)
	v_add_f64_e32 v[18:19], v[24:25], v[22:23]
	v_add_f64_e32 v[20:21], v[26:27], v[0:1]
	v_add_f64_e64 v[22:23], v[24:25], -v[22:23]
	v_add_f64_e64 v[24:25], v[26:27], -v[0:1]
	s_wait_loadcnt 0x0
	ds_store_b128 v183, v[2:5]
	ds_store_b128 v183, v[10:13] offset:160
	ds_store_b128 v183, v[18:21] offset:320
	;; [unrolled: 1-line block ×5, first 2 shown]
	global_wb scope:SCOPE_SE
	s_wait_dscnt 0x0
	s_barrier_signal -1
	s_barrier_wait -1
	global_inv scope:SCOPE_SE
	s_clause 0x1
	scratch_load_b128 v[8:11], off, off offset:920 th:TH_LOAD_LU
	scratch_load_b128 v[16:19], off, off offset:1288 th:TH_LOAD_LU
	ds_load_b128 v[0:3], v231 offset:7680
	scratch_load_b128 v[76:79], off, off offset:1320 th:TH_LOAD_LU ; 16-byte Folded Reload
	s_wait_loadcnt_dscnt 0x200
	v_mul_f64_e32 v[4:5], v[10:11], v[2:3]
	s_delay_alu instid0(VALU_DEP_1) | instskip(SKIP_1) | instid1(VALU_DEP_1)
	v_fma_f64 v[6:7], v[8:9], v[0:1], v[4:5]
	v_mul_f64_e32 v[0:1], v[10:11], v[0:1]
	v_fma_f64 v[84:85], v[8:9], v[2:3], -v[0:1]
	scratch_load_b128 v[8:11], off, off offset:936 th:TH_LOAD_LU ; 16-byte Folded Reload
	ds_load_b128 v[0:3], v231 offset:15360
	s_wait_loadcnt_dscnt 0x0
	v_mul_f64_e32 v[4:5], v[10:11], v[2:3]
	s_delay_alu instid0(VALU_DEP_1) | instskip(SKIP_1) | instid1(VALU_DEP_1)
	v_fma_f64 v[86:87], v[8:9], v[0:1], v[4:5]
	v_mul_f64_e32 v[0:1], v[10:11], v[0:1]
	v_fma_f64 v[88:89], v[8:9], v[2:3], -v[0:1]
	scratch_load_b128 v[8:11], off, off offset:952 th:TH_LOAD_LU ; 16-byte Folded Reload
	ds_load_b128 v[0:3], v231 offset:23040
	;; [unrolled: 8-line block ×20, first 2 shown]
	s_wait_loadcnt_dscnt 0x0
	v_mul_f64_e32 v[0:1], v[10:11], v[4:5]
	s_delay_alu instid0(VALU_DEP_1)
	v_fma_f64 v[0:1], v[8:9], v[2:3], v[0:1]
	v_mul_f64_e32 v[2:3], v[10:11], v[2:3]
	scratch_load_b128 v[10:13], off, off offset:1272 th:TH_LOAD_LU ; 16-byte Folded Reload
	v_fma_f64 v[72:73], v[8:9], v[4:5], -v[2:3]
	ds_load_b128 v[2:5], v231 offset:21504
	s_wait_loadcnt_dscnt 0x0
	v_mul_f64_e32 v[8:9], v[12:13], v[4:5]
	s_delay_alu instid0(VALU_DEP_1) | instskip(SKIP_1) | instid1(VALU_DEP_1)
	v_fma_f64 v[8:9], v[10:11], v[2:3], v[8:9]
	v_mul_f64_e32 v[2:3], v[12:13], v[2:3]
	v_fma_f64 v[10:11], v[10:11], v[4:5], -v[2:3]
	ds_load_b128 v[2:5], v231 offset:29184
	s_wait_dscnt 0x0
	v_mul_f64_e32 v[12:13], v[18:19], v[4:5]
	s_delay_alu instid0(VALU_DEP_1)
	v_fma_f64 v[14:15], v[16:17], v[2:3], v[12:13]
	v_mul_f64_e32 v[2:3], v[18:19], v[2:3]
	scratch_load_b128 v[18:21], off, off offset:1304 th:TH_LOAD_LU ; 16-byte Folded Reload
	v_fma_f64 v[12:13], v[16:17], v[4:5], -v[2:3]
	ds_load_b128 v[2:5], v231 offset:36864
	s_wait_loadcnt_dscnt 0x0
	v_mul_f64_e32 v[16:17], v[20:21], v[4:5]
	s_delay_alu instid0(VALU_DEP_1) | instskip(SKIP_1) | instid1(VALU_DEP_1)
	v_fma_f64 v[16:17], v[18:19], v[2:3], v[16:17]
	v_mul_f64_e32 v[2:3], v[20:21], v[2:3]
	v_fma_f64 v[18:19], v[18:19], v[4:5], -v[2:3]
	ds_load_b128 v[2:5], v231 offset:44544
	s_wait_dscnt 0x0
	v_mul_f64_e32 v[20:21], v[78:79], v[4:5]
	s_delay_alu instid0(VALU_DEP_1) | instskip(SKIP_1) | instid1(VALU_DEP_1)
	v_fma_f64 v[22:23], v[76:77], v[2:3], v[20:21]
	v_mul_f64_e32 v[2:3], v[78:79], v[2:3]
	v_fma_f64 v[20:21], v[76:77], v[4:5], -v[2:3]
	v_add_f64_e32 v[76:77], v[86:87], v[104:105]
	ds_load_b128 v[2:5], v231
	s_wait_dscnt 0x0
	v_fma_f64 v[112:113], v[76:77], -0.5, v[2:3]
	v_add_f64_e32 v[76:77], v[88:89], v[106:107]
	v_add_f64_e32 v[2:3], v[2:3], v[86:87]
	s_delay_alu instid0(VALU_DEP_2) | instskip(SKIP_2) | instid1(VALU_DEP_4)
	v_fma_f64 v[114:115], v[76:77], -0.5, v[4:5]
	v_add_f64_e32 v[76:77], v[6:7], v[90:91]
	v_add_f64_e32 v[4:5], v[4:5], v[88:89]
	v_add_f64_e32 v[2:3], v[2:3], v[104:105]
	v_add_f64_e64 v[104:105], v[86:87], -v[104:105]
	s_delay_alu instid0(VALU_DEP_4) | instskip(SKIP_3) | instid1(VALU_DEP_3)
	v_add_f64_e32 v[80:81], v[76:77], v[108:109]
	v_add_f64_e32 v[76:77], v[84:85], v[102:103]
	;; [unrolled: 1-line block ×3, first 2 shown]
	v_add_f64_e64 v[106:107], v[88:89], -v[106:107]
	v_add_f64_e32 v[82:83], v[76:77], v[110:111]
	v_add_f64_e32 v[76:77], v[2:3], v[80:81]
	v_add_f64_e64 v[80:81], v[2:3], -v[80:81]
	v_add_f64_e32 v[2:3], v[90:91], v[108:109]
	s_delay_alu instid0(VALU_DEP_4)
	v_add_f64_e32 v[78:79], v[4:5], v[82:83]
	v_add_f64_e64 v[82:83], v[4:5], -v[82:83]
	v_add_f64_e64 v[4:5], v[90:91], -v[108:109]
	v_add_f64_e32 v[90:91], v[102:103], v[110:111]
	v_add_f64_e64 v[102:103], v[102:103], -v[110:111]
	v_fma_f64 v[2:3], v[2:3], -0.5, v[6:7]
	v_fma_f64 v[110:111], v[104:105], s[2:3], v[114:115]
	s_delay_alu instid0(VALU_DEP_4) | instskip(SKIP_1) | instid1(VALU_DEP_4)
	v_fma_f64 v[108:109], v[90:91], -0.5, v[84:85]
	v_fma_f64 v[90:91], v[106:107], s[12:13], v[112:113]
	v_fma_f64 v[86:87], v[102:103], s[12:13], v[2:3]
	v_fma_f64 v[2:3], v[102:103], s[2:3], v[2:3]
	s_delay_alu instid0(VALU_DEP_4) | instskip(SKIP_2) | instid1(VALU_DEP_3)
	v_fma_f64 v[6:7], v[4:5], s[2:3], v[108:109]
	v_fma_f64 v[4:5], v[4:5], s[12:13], v[108:109]
	;; [unrolled: 1-line block ×3, first 2 shown]
	v_mul_f64_e32 v[84:85], s[12:13], v[6:7]
	v_mul_f64_e32 v[6:7], 0.5, v[6:7]
	s_delay_alu instid0(VALU_DEP_4) | instskip(SKIP_1) | instid1(VALU_DEP_4)
	v_mul_f64_e32 v[102:103], s[12:13], v[4:5]
	v_mul_f64_e32 v[4:5], -0.5, v[4:5]
	v_fma_f64 v[88:89], v[86:87], 0.5, v[84:85]
	s_delay_alu instid0(VALU_DEP_4) | instskip(NEXT) | instid1(VALU_DEP_2)
	v_fma_f64 v[6:7], v[86:87], s[2:3], v[6:7]
	v_add_f64_e32 v[84:85], v[90:91], v[88:89]
	s_delay_alu instid0(VALU_DEP_2)
	v_add_f64_e32 v[86:87], v[110:111], v[6:7]
	v_add_f64_e64 v[88:89], v[90:91], -v[88:89]
	v_add_f64_e64 v[90:91], v[110:111], -v[6:7]
	v_fma_f64 v[6:7], v[106:107], s[2:3], v[112:113]
	v_fma_f64 v[106:107], v[2:3], -0.5, v[102:103]
	v_fma_f64 v[2:3], v[2:3], s[2:3], v[4:5]
	s_delay_alu instid0(VALU_DEP_2) | instskip(NEXT) | instid1(VALU_DEP_2)
	v_add_f64_e32 v[102:103], v[6:7], v[106:107]
	v_add_f64_e32 v[104:105], v[108:109], v[2:3]
	v_add_f64_e64 v[106:107], v[6:7], -v[106:107]
	v_add_f64_e64 v[108:109], v[108:109], -v[2:3]
	ds_load_b128 v[3:6], v231 offset:6144
	ds_load_b128 v[110:113], v231 offset:1536
	;; [unrolled: 1-line block ×4, first 2 shown]
	global_wb scope:SCOPE_SE
	s_wait_dscnt 0x0
	s_barrier_signal -1
	s_barrier_wait -1
	global_inv scope:SCOPE_SE
	ds_store_b128 v230, v[76:79]
	ds_store_b128 v230, v[80:83] offset:2880
	ds_store_b128 v230, v[84:87] offset:960
	;; [unrolled: 1-line block ×5, first 2 shown]
	v_add_f64_e32 v[76:77], v[64:65], v[68:69]
	v_add_f64_e32 v[78:79], v[112:113], v[98:99]
	s_delay_alu instid0(VALU_DEP_2) | instskip(SKIP_1) | instid1(VALU_DEP_3)
	v_fma_f64 v[84:85], v[76:77], -0.5, v[110:111]
	v_add_f64_e32 v[76:77], v[98:99], v[94:95]
	v_add_f64_e32 v[82:83], v[78:79], v[94:95]
	v_add_f64_e64 v[94:95], v[98:99], -v[94:95]
	s_delay_alu instid0(VALU_DEP_3) | instskip(SKIP_1) | instid1(VALU_DEP_1)
	v_fma_f64 v[86:87], v[76:77], -0.5, v[112:113]
	v_add_f64_e32 v[76:77], v[110:111], v[64:65]
	v_add_f64_e32 v[80:81], v[76:77], v[68:69]
	;; [unrolled: 1-line block ×3, first 2 shown]
	s_delay_alu instid0(VALU_DEP_1) | instskip(SKIP_1) | instid1(VALU_DEP_1)
	v_add_f64_e32 v[88:89], v[76:77], v[92:93]
	v_add_f64_e32 v[76:77], v[100:101], v[66:67]
	;; [unrolled: 1-line block ×3, first 2 shown]
	s_delay_alu instid0(VALU_DEP_3) | instskip(SKIP_2) | instid1(VALU_DEP_4)
	v_add_f64_e32 v[76:77], v[80:81], v[88:89]
	v_add_f64_e64 v[80:81], v[80:81], -v[88:89]
	v_add_f64_e32 v[88:89], v[96:97], v[92:93]
	v_add_f64_e32 v[78:79], v[82:83], v[90:91]
	v_add_f64_e64 v[82:83], v[82:83], -v[90:91]
	v_add_f64_e64 v[90:91], v[96:97], -v[92:93]
	v_add_f64_e32 v[92:93], v[66:67], v[70:71]
	v_add_f64_e64 v[70:71], v[66:67], -v[70:71]
	v_fma_f64 v[88:89], v[88:89], -0.5, v[62:63]
	v_add_f64_e64 v[96:97], v[64:65], -v[68:69]
	s_delay_alu instid0(VALU_DEP_4) | instskip(NEXT) | instid1(VALU_DEP_3)
	v_fma_f64 v[92:93], v[92:93], -0.5, v[100:101]
	v_fma_f64 v[66:67], v[70:71], s[12:13], v[88:89]
	s_delay_alu instid0(VALU_DEP_3) | instskip(SKIP_1) | instid1(VALU_DEP_4)
	v_fma_f64 v[100:101], v[96:97], s[2:3], v[86:87]
	v_fma_f64 v[70:71], v[70:71], s[2:3], v[88:89]
	;; [unrolled: 1-line block ×5, first 2 shown]
	s_delay_alu instid0(VALU_DEP_3) | instskip(SKIP_1) | instid1(VALU_DEP_2)
	v_mul_f64_e32 v[64:65], s[12:13], v[62:63]
	v_mul_f64_e32 v[62:63], 0.5, v[62:63]
	v_fma_f64 v[68:69], v[66:67], 0.5, v[64:65]
	s_delay_alu instid0(VALU_DEP_2)
	v_fma_f64 v[98:99], v[66:67], s[2:3], v[62:63]
	v_fma_f64 v[66:67], v[94:95], s[12:13], v[84:85]
	;; [unrolled: 1-line block ×3, first 2 shown]
	v_mul_f64_e32 v[84:85], s[12:13], v[90:91]
	v_mul_f64_e32 v[86:87], -0.5, v[90:91]
	v_add_f64_e32 v[64:65], v[100:101], v[98:99]
	v_add_f64_e32 v[62:63], v[66:67], v[68:69]
	v_add_f64_e64 v[66:67], v[66:67], -v[68:69]
	v_fma_f64 v[88:89], v[70:71], -0.5, v[84:85]
	v_fma_f64 v[70:71], v[70:71], s[2:3], v[86:87]
	v_add_f64_e64 v[68:69], v[100:101], -v[98:99]
	s_delay_alu instid0(VALU_DEP_3) | instskip(NEXT) | instid1(VALU_DEP_3)
	v_add_f64_e32 v[84:85], v[92:93], v[88:89]
	v_add_f64_e32 v[86:87], v[94:95], v[70:71]
	v_add_f64_e64 v[88:89], v[92:93], -v[88:89]
	v_add_f64_e64 v[90:91], v[94:95], -v[70:71]
	ds_store_b128 v184, v[76:79]
	ds_store_b128 v184, v[62:65] offset:960
	ds_store_b128 v184, v[84:87] offset:1920
	;; [unrolled: 1-line block ×5, first 2 shown]
	v_add_f64_e32 v[62:63], v[48:49], v[56:57]
	scratch_load_b32 v184, off, off offset:1388 th:TH_LOAD_LU ; 4-byte Folded Reload
	v_add_f64_e32 v[64:65], v[116:117], v[50:51]
	v_fma_f64 v[70:71], v[62:63], -0.5, v[114:115]
	v_add_f64_e32 v[62:63], v[50:51], v[58:59]
	s_delay_alu instid0(VALU_DEP_3) | instskip(SKIP_1) | instid1(VALU_DEP_3)
	v_add_f64_e32 v[68:69], v[64:65], v[58:59]
	v_add_f64_e64 v[58:59], v[50:51], -v[58:59]
	v_fma_f64 v[76:77], v[62:63], -0.5, v[116:117]
	v_add_f64_e32 v[62:63], v[114:115], v[48:49]
	s_delay_alu instid0(VALU_DEP_1) | instskip(SKIP_2) | instid1(VALU_DEP_2)
	v_add_f64_e32 v[66:67], v[62:63], v[56:57]
	v_add_f64_e32 v[62:63], v[44:45], v[54:55]
	v_add_f64_e64 v[56:57], v[48:49], -v[56:57]
	v_add_f64_e32 v[78:79], v[62:63], v[74:75]
	v_add_f64_e32 v[62:63], v[46:47], v[52:53]
	s_delay_alu instid0(VALU_DEP_1) | instskip(NEXT) | instid1(VALU_DEP_3)
	v_add_f64_e32 v[80:81], v[62:63], v[60:61]
	v_add_f64_e32 v[62:63], v[66:67], v[78:79]
	v_add_f64_e64 v[66:67], v[66:67], -v[78:79]
	v_add_f64_e32 v[78:79], v[54:55], v[74:75]
	v_add_f64_e64 v[54:55], v[54:55], -v[74:75]
	v_add_f64_e32 v[74:75], v[52:53], v[60:61]
	v_add_f64_e64 v[52:53], v[52:53], -v[60:61]
	v_add_f64_e32 v[64:65], v[68:69], v[80:81]
	v_add_f64_e64 v[68:69], v[68:69], -v[80:81]
	v_fma_f64 v[80:81], v[56:57], s[2:3], v[76:77]
	v_fma_f64 v[60:61], v[78:79], -0.5, v[44:45]
	v_fma_f64 v[74:75], v[74:75], -0.5, v[46:47]
	s_delay_alu instid0(VALU_DEP_2) | instskip(SKIP_1) | instid1(VALU_DEP_3)
	v_fma_f64 v[48:49], v[52:53], s[12:13], v[60:61]
	v_fma_f64 v[52:53], v[52:53], s[2:3], v[60:61]
	;; [unrolled: 1-line block ×4, first 2 shown]
	s_delay_alu instid0(VALU_DEP_2) | instskip(SKIP_1) | instid1(VALU_DEP_2)
	v_mul_f64_e32 v[46:47], s[12:13], v[44:45]
	v_mul_f64_e32 v[44:45], 0.5, v[44:45]
	v_fma_f64 v[50:51], v[48:49], 0.5, v[46:47]
	s_delay_alu instid0(VALU_DEP_2)
	v_fma_f64 v[78:79], v[48:49], s[2:3], v[44:45]
	v_fma_f64 v[48:49], v[58:59], s[12:13], v[70:71]
	;; [unrolled: 1-line block ×4, first 2 shown]
	v_mul_f64_e32 v[56:57], s[12:13], v[54:55]
	v_mul_f64_e32 v[54:55], -0.5, v[54:55]
	v_add_f64_e32 v[46:47], v[80:81], v[78:79]
	v_add_f64_e32 v[44:45], v[48:49], v[50:51]
	v_add_f64_e64 v[48:49], v[48:49], -v[50:51]
	v_add_f64_e64 v[50:51], v[80:81], -v[78:79]
	v_fma_f64 v[56:57], v[52:53], -0.5, v[56:57]
	v_fma_f64 v[60:61], v[52:53], s[2:3], v[54:55]
	s_delay_alu instid0(VALU_DEP_2) | instskip(NEXT) | instid1(VALU_DEP_2)
	v_add_f64_e32 v[52:53], v[58:59], v[56:57]
	v_add_f64_e32 v[54:55], v[70:71], v[60:61]
	v_add_f64_e64 v[56:57], v[58:59], -v[56:57]
	v_add_f64_e64 v[58:59], v[70:71], -v[60:61]
	s_wait_loadcnt 0x0
	ds_store_b128 v184, v[62:65]
	ds_store_b128 v184, v[44:47] offset:960
	ds_store_b128 v184, v[52:55] offset:1920
	;; [unrolled: 1-line block ×5, first 2 shown]
	v_add_f64_e32 v[44:45], v[28:29], v[36:37]
	scratch_load_b32 v184, off, off offset:1352 th:TH_LOAD_LU ; 4-byte Folded Reload
	v_add_f64_e32 v[46:47], v[120:121], v[30:31]
	v_fma_f64 v[52:53], v[44:45], -0.5, v[118:119]
	v_add_f64_e32 v[44:45], v[30:31], v[38:39]
	s_delay_alu instid0(VALU_DEP_3) | instskip(SKIP_1) | instid1(VALU_DEP_3)
	v_add_f64_e32 v[50:51], v[46:47], v[38:39]
	v_add_f64_e64 v[38:39], v[30:31], -v[38:39]
	v_fma_f64 v[54:55], v[44:45], -0.5, v[120:121]
	v_add_f64_e32 v[44:45], v[118:119], v[28:29]
	s_delay_alu instid0(VALU_DEP_1) | instskip(SKIP_2) | instid1(VALU_DEP_2)
	v_add_f64_e32 v[48:49], v[44:45], v[36:37]
	v_add_f64_e32 v[44:45], v[24:25], v[34:35]
	v_add_f64_e64 v[36:37], v[28:29], -v[36:37]
	v_add_f64_e32 v[56:57], v[44:45], v[42:43]
	v_add_f64_e32 v[44:45], v[26:27], v[32:33]
	s_delay_alu instid0(VALU_DEP_1) | instskip(NEXT) | instid1(VALU_DEP_3)
	v_add_f64_e32 v[58:59], v[44:45], v[40:41]
	v_add_f64_e32 v[44:45], v[48:49], v[56:57]
	v_add_f64_e64 v[48:49], v[48:49], -v[56:57]
	v_add_f64_e32 v[56:57], v[34:35], v[42:43]
	v_add_f64_e64 v[34:35], v[34:35], -v[42:43]
	;; [unrolled: 2-line block ×4, first 2 shown]
	v_fma_f64 v[58:59], v[36:37], s[2:3], v[54:55]
	v_fma_f64 v[40:41], v[56:57], -0.5, v[24:25]
	v_fma_f64 v[42:43], v[42:43], -0.5, v[26:27]
	s_delay_alu instid0(VALU_DEP_2) | instskip(SKIP_1) | instid1(VALU_DEP_3)
	v_fma_f64 v[28:29], v[32:33], s[12:13], v[40:41]
	v_fma_f64 v[32:33], v[32:33], s[2:3], v[40:41]
	v_fma_f64 v[24:25], v[34:35], s[2:3], v[42:43]
	v_fma_f64 v[34:35], v[34:35], s[12:13], v[42:43]
	v_fma_f64 v[42:43], v[36:37], s[12:13], v[54:55]
	s_delay_alu instid0(VALU_DEP_3) | instskip(SKIP_1) | instid1(VALU_DEP_4)
	v_mul_f64_e32 v[26:27], s[12:13], v[24:25]
	v_mul_f64_e32 v[24:25], 0.5, v[24:25]
	v_mul_f64_e32 v[36:37], s[12:13], v[34:35]
	v_mul_f64_e32 v[34:35], -0.5, v[34:35]
	s_delay_alu instid0(VALU_DEP_4) | instskip(NEXT) | instid1(VALU_DEP_4)
	v_fma_f64 v[30:31], v[28:29], 0.5, v[26:27]
	v_fma_f64 v[56:57], v[28:29], s[2:3], v[24:25]
	v_fma_f64 v[28:29], v[38:39], s[12:13], v[52:53]
	;; [unrolled: 1-line block ×3, first 2 shown]
	v_fma_f64 v[36:37], v[32:33], -0.5, v[36:37]
	v_fma_f64 v[40:41], v[32:33], s[2:3], v[34:35]
	v_add_f64_e32 v[26:27], v[58:59], v[56:57]
	v_add_f64_e32 v[24:25], v[28:29], v[30:31]
	v_add_f64_e64 v[28:29], v[28:29], -v[30:31]
	v_add_f64_e32 v[32:33], v[38:39], v[36:37]
	v_add_f64_e32 v[34:35], v[42:43], v[40:41]
	v_add_f64_e64 v[30:31], v[58:59], -v[56:57]
	v_add_f64_e64 v[36:37], v[38:39], -v[36:37]
	;; [unrolled: 1-line block ×3, first 2 shown]
	s_wait_loadcnt 0x0
	ds_store_b128 v184, v[44:47]
	ds_store_b128 v184, v[24:27] offset:960
	ds_store_b128 v184, v[32:35] offset:1920
	;; [unrolled: 1-line block ×5, first 2 shown]
	v_add_f64_e32 v[24:25], v[8:9], v[16:17]
	s_delay_alu instid0(VALU_DEP_1) | instskip(SKIP_2) | instid1(VALU_DEP_2)
	v_fma_f64 v[28:29], v[24:25], -0.5, v[3:4]
	v_add_f64_e32 v[24:25], v[10:11], v[18:19]
	v_add_f64_e32 v[2:3], v[3:4], v[8:9]
	v_fma_f64 v[30:31], v[24:25], -0.5, v[5:6]
	v_add_f64_e32 v[4:5], v[5:6], v[10:11]
	s_delay_alu instid0(VALU_DEP_3) | instskip(SKIP_2) | instid1(VALU_DEP_4)
	v_add_f64_e32 v[6:7], v[2:3], v[16:17]
	v_add_f64_e32 v[2:3], v[0:1], v[14:15]
	v_add_f64_e64 v[16:17], v[8:9], -v[16:17]
	v_add_f64_e32 v[26:27], v[4:5], v[18:19]
	v_add_f64_e64 v[18:19], v[10:11], -v[18:19]
	s_delay_alu instid0(VALU_DEP_4) | instskip(SKIP_2) | instid1(VALU_DEP_2)
	v_add_f64_e32 v[24:25], v[2:3], v[22:23]
	v_add_f64_e32 v[2:3], v[72:73], v[12:13]
	v_fma_f64 v[34:35], v[16:17], s[2:3], v[30:31]
	v_add_f64_e32 v[32:33], v[2:3], v[20:21]
	s_delay_alu instid0(VALU_DEP_4)
	v_add_f64_e32 v[2:3], v[6:7], v[24:25]
	v_add_f64_e64 v[24:25], v[6:7], -v[24:25]
	v_add_f64_e32 v[6:7], v[14:15], v[22:23]
	v_add_f64_e64 v[14:15], v[14:15], -v[22:23]
	v_add_f64_e32 v[22:23], v[12:13], v[20:21]
	v_add_f64_e64 v[20:21], v[12:13], -v[20:21]
	v_add_f64_e32 v[4:5], v[26:27], v[32:33]
	v_add_f64_e64 v[26:27], v[26:27], -v[32:33]
	v_fma_f64 v[0:1], v[6:7], -0.5, v[0:1]
	v_fma_f64 v[22:23], v[22:23], -0.5, v[72:73]
	s_delay_alu instid0(VALU_DEP_2) | instskip(SKIP_1) | instid1(VALU_DEP_3)
	v_fma_f64 v[10:11], v[20:21], s[12:13], v[0:1]
	v_fma_f64 v[0:1], v[20:21], s[2:3], v[0:1]
	;; [unrolled: 1-line block ×5, first 2 shown]
	s_delay_alu instid0(VALU_DEP_3) | instskip(SKIP_1) | instid1(VALU_DEP_4)
	v_mul_f64_e32 v[8:9], s[12:13], v[6:7]
	v_mul_f64_e32 v[6:7], 0.5, v[6:7]
	v_mul_f64_e32 v[16:17], s[12:13], v[14:15]
	v_mul_f64_e32 v[14:15], -0.5, v[14:15]
	s_delay_alu instid0(VALU_DEP_4) | instskip(NEXT) | instid1(VALU_DEP_4)
	v_fma_f64 v[12:13], v[10:11], 0.5, v[8:9]
	v_fma_f64 v[32:33], v[10:11], s[2:3], v[6:7]
	v_fma_f64 v[10:11], v[18:19], s[12:13], v[28:29]
	;; [unrolled: 1-line block ×3, first 2 shown]
	v_fma_f64 v[20:21], v[0:1], -0.5, v[16:17]
	v_fma_f64 v[0:1], v[0:1], s[2:3], v[14:15]
	v_add_f64_e32 v[8:9], v[34:35], v[32:33]
	v_add_f64_e32 v[6:7], v[10:11], v[12:13]
	v_add_f64_e64 v[10:11], v[10:11], -v[12:13]
	v_add_f64_e32 v[14:15], v[18:19], v[20:21]
	v_add_f64_e32 v[16:17], v[22:23], v[0:1]
	v_add_f64_e64 v[12:13], v[34:35], -v[32:33]
	v_add_f64_e64 v[18:19], v[18:19], -v[20:21]
	v_add_f64_e64 v[20:21], v[22:23], -v[0:1]
	ds_store_b128 v229, v[2:5]
	ds_store_b128 v229, v[6:9] offset:960
	ds_store_b128 v229, v[14:17] offset:1920
	;; [unrolled: 1-line block ×5, first 2 shown]
	global_wb scope:SCOPE_SE
	s_wait_dscnt 0x0
	s_barrier_signal -1
	s_barrier_wait -1
	global_inv scope:SCOPE_SE
	s_clause 0x1
	scratch_load_b128 v[6:9], off, off offset:1336 th:TH_LOAD_LU
	scratch_load_b128 v[14:17], off, off offset:1356 th:TH_LOAD_LU
	ds_load_b128 v[0:3], v231 offset:23040
	ds_load_b128 v[24:27], v231 offset:4608
	s_wait_loadcnt_dscnt 0x101
	v_mul_f64_e32 v[4:5], v[8:9], v[2:3]
	s_delay_alu instid0(VALU_DEP_1) | instskip(SKIP_1) | instid1(VALU_DEP_1)
	v_fma_f64 v[4:5], v[6:7], v[0:1], v[4:5]
	v_mul_f64_e32 v[0:1], v[8:9], v[0:1]
	v_fma_f64 v[6:7], v[6:7], v[2:3], -v[0:1]
	ds_load_b128 v[0:3], v231 offset:24576
	s_wait_loadcnt_dscnt 0x0
	v_mul_f64_e32 v[8:9], v[16:17], v[2:3]
	s_delay_alu instid0(VALU_DEP_1)
	v_fma_f64 v[12:13], v[14:15], v[0:1], v[8:9]
	v_mul_f64_e32 v[0:1], v[16:17], v[0:1]
	scratch_load_b128 v[16:19], off, off offset:1372 th:TH_LOAD_LU ; 16-byte Folded Reload
	v_fma_f64 v[14:15], v[14:15], v[2:3], -v[0:1]
	ds_load_b128 v[0:3], v231 offset:26112
	s_wait_loadcnt_dscnt 0x0
	v_mul_f64_e32 v[8:9], v[18:19], v[2:3]
	s_delay_alu instid0(VALU_DEP_1) | instskip(SKIP_1) | instid1(VALU_DEP_1)
	v_fma_f64 v[20:21], v[16:17], v[0:1], v[8:9]
	v_mul_f64_e32 v[0:1], v[18:19], v[0:1]
	v_fma_f64 v[22:23], v[16:17], v[2:3], -v[0:1]
	scratch_load_b128 v[16:19], off, off offset:1392 th:TH_LOAD_LU ; 16-byte Folded Reload
	ds_load_b128 v[0:3], v231 offset:27648
	s_wait_loadcnt_dscnt 0x0
	v_mul_f64_e32 v[8:9], v[18:19], v[2:3]
	s_delay_alu instid0(VALU_DEP_1) | instskip(SKIP_1) | instid1(VALU_DEP_2)
	v_fma_f64 v[28:29], v[16:17], v[0:1], v[8:9]
	v_mul_f64_e32 v[0:1], v[18:19], v[0:1]
	v_add_f64_e64 v[28:29], v[24:25], -v[28:29]
	s_delay_alu instid0(VALU_DEP_2) | instskip(SKIP_4) | instid1(VALU_DEP_1)
	v_fma_f64 v[30:31], v[16:17], v[2:3], -v[0:1]
	scratch_load_b128 v[16:19], off, off offset:1408 th:TH_LOAD_LU ; 16-byte Folded Reload
	ds_load_b128 v[0:3], v231 offset:29184
	v_fma_f64 v[24:25], v[24:25], 2.0, -v[28:29]
	v_add_f64_e64 v[30:31], v[26:27], -v[30:31]
	v_fma_f64 v[26:27], v[26:27], 2.0, -v[30:31]
	s_wait_loadcnt_dscnt 0x0
	v_mul_f64_e32 v[8:9], v[18:19], v[2:3]
	s_delay_alu instid0(VALU_DEP_1) | instskip(SKIP_1) | instid1(VALU_DEP_1)
	v_fma_f64 v[76:77], v[16:17], v[0:1], v[8:9]
	v_mul_f64_e32 v[0:1], v[18:19], v[0:1]
	v_fma_f64 v[78:79], v[16:17], v[2:3], -v[0:1]
	scratch_load_b128 v[16:19], off, off offset:1424 th:TH_LOAD_LU ; 16-byte Folded Reload
	ds_load_b128 v[0:3], v231 offset:30720
	s_wait_loadcnt_dscnt 0x0
	v_mul_f64_e32 v[8:9], v[18:19], v[2:3]
	s_delay_alu instid0(VALU_DEP_1) | instskip(SKIP_1) | instid1(VALU_DEP_1)
	v_fma_f64 v[80:81], v[16:17], v[0:1], v[8:9]
	v_mul_f64_e32 v[0:1], v[18:19], v[0:1]
	v_fma_f64 v[82:83], v[16:17], v[2:3], -v[0:1]
	scratch_load_b128 v[16:19], off, off offset:1440 th:TH_LOAD_LU ; 16-byte Folded Reload
	ds_load_b128 v[0:3], v231 offset:32256
	;; [unrolled: 8-line block ×10, first 2 shown]
	s_wait_loadcnt_dscnt 0x0
	v_mul_f64_e32 v[8:9], v[18:19], v[2:3]
	s_delay_alu instid0(VALU_DEP_1)
	v_fma_f64 v[116:117], v[16:17], v[0:1], v[8:9]
	v_mul_f64_e32 v[0:1], v[18:19], v[0:1]
	ds_load_b128 v[8:11], v231 offset:1536
	s_wait_dscnt 0x0
	v_add_f64_e64 v[12:13], v[8:9], -v[12:13]
	v_add_f64_e64 v[14:15], v[10:11], -v[14:15]
	v_fma_f64 v[118:119], v[16:17], v[2:3], -v[0:1]
	ds_load_b128 v[0:3], v231
	ds_load_b128 v[16:19], v231 offset:3072
	ds_load_b128 v[32:35], v231 offset:21504
	;; [unrolled: 1-line block ×12, first 2 shown]
	global_wb scope:SCOPE_SE
	s_wait_dscnt 0x0
	s_barrier_signal -1
	s_barrier_wait -1
	global_inv scope:SCOPE_SE
	v_add_f64_e64 v[4:5], v[0:1], -v[4:5]
	v_add_f64_e64 v[6:7], v[2:3], -v[6:7]
	;; [unrolled: 1-line block ×4, first 2 shown]
	v_fma_f64 v[8:9], v[8:9], 2.0, -v[12:13]
	v_fma_f64 v[10:11], v[10:11], 2.0, -v[14:15]
	;; [unrolled: 1-line block ×6, first 2 shown]
	ds_store_b128 v231, v[4:7] offset:5760
	ds_store_b128 v231, v[12:15] offset:7296
	;; [unrolled: 1-line block ×3, first 2 shown]
	ds_store_b128 v231, v[0:3]
	ds_store_b128 v231, v[8:11] offset:1536
	ds_store_b128 v231, v[16:19] offset:3072
	scratch_load_b32 v0, off, off offset:1616 th:TH_LOAD_LU ; 4-byte Folded Reload
	s_wait_loadcnt 0x0
	ds_store_b128 v0, v[24:27]
	ds_store_b128 v0, v[28:31] offset:5760
	v_add_f64_e64 v[0:1], v[36:37], -v[76:77]
	v_add_f64_e64 v[2:3], v[38:39], -v[78:79]
	;; [unrolled: 1-line block ×8, first 2 shown]
	v_fma_f64 v[4:5], v[36:37], 2.0, -v[0:1]
	v_fma_f64 v[6:7], v[38:39], 2.0, -v[2:3]
	;; [unrolled: 1-line block ×6, first 2 shown]
	ds_store_b128 v231, v[4:7] offset:11904
	ds_store_b128 v231, v[12:15] offset:13440
	;; [unrolled: 1-line block ×6, first 2 shown]
	scratch_load_b32 v0, off, off offset:1596 th:TH_LOAD_LU ; 4-byte Folded Reload
	v_fma_f64 v[28:29], v[48:49], 2.0, -v[24:25]
	v_fma_f64 v[30:31], v[50:51], 2.0, -v[26:27]
	s_wait_loadcnt 0x0
	ds_store_b128 v0, v[28:31]
	ds_store_b128 v0, v[24:27] offset:5760
	scratch_load_b32 v8, off, off offset:1592 th:TH_LOAD_LU ; 4-byte Folded Reload
	v_add_f64_e64 v[0:1], v[52:53], -v[92:93]
	v_add_f64_e64 v[2:3], v[54:55], -v[94:95]
	s_delay_alu instid0(VALU_DEP_2) | instskip(NEXT) | instid1(VALU_DEP_2)
	v_fma_f64 v[4:5], v[52:53], 2.0, -v[0:1]
	v_fma_f64 v[6:7], v[54:55], 2.0, -v[2:3]
	s_wait_loadcnt 0x0
	ds_store_b128 v8, v[4:7] offset:23040
	ds_store_b128 v8, v[0:3] offset:28800
	scratch_load_b32 v8, off, off offset:1588 th:TH_LOAD_LU ; 4-byte Folded Reload
	v_add_f64_e64 v[0:1], v[56:57], -v[96:97]
	v_add_f64_e64 v[2:3], v[58:59], -v[98:99]
	s_delay_alu instid0(VALU_DEP_2) | instskip(NEXT) | instid1(VALU_DEP_2)
	v_fma_f64 v[4:5], v[56:57], 2.0, -v[0:1]
	v_fma_f64 v[6:7], v[58:59], 2.0, -v[2:3]
	s_wait_loadcnt 0x0
	ds_store_b128 v8, v[4:7] offset:23040
	;; [unrolled: 9-line block ×3, first 2 shown]
	ds_store_b128 v8, v[0:3] offset:28800
	scratch_load_b32 v8, off, off offset:1580 th:TH_LOAD_LU ; 4-byte Folded Reload
	v_add_f64_e64 v[0:1], v[64:65], -v[104:105]
	v_add_f64_e64 v[2:3], v[66:67], -v[106:107]
	s_delay_alu instid0(VALU_DEP_2) | instskip(NEXT) | instid1(VALU_DEP_2)
	v_fma_f64 v[4:5], v[64:65], 2.0, -v[0:1]
	v_fma_f64 v[6:7], v[66:67], 2.0, -v[2:3]
	s_wait_loadcnt 0x0
	ds_store_b128 v8, v[4:7]
	ds_store_b128 v8, v[0:3] offset:5760
	scratch_load_b32 v8, off, off offset:1560 th:TH_LOAD_LU ; 4-byte Folded Reload
	v_add_f64_e64 v[0:1], v[68:69], -v[108:109]
	v_add_f64_e64 v[2:3], v[70:71], -v[110:111]
	s_delay_alu instid0(VALU_DEP_2) | instskip(NEXT) | instid1(VALU_DEP_2)
	v_fma_f64 v[4:5], v[68:69], 2.0, -v[0:1]
	v_fma_f64 v[6:7], v[70:71], 2.0, -v[2:3]
	s_wait_loadcnt 0x0
	ds_store_b128 v8, v[4:7] offset:34560
	ds_store_b128 v8, v[0:3] offset:40320
	scratch_load_b32 v8, off, off offset:1556 th:TH_LOAD_LU ; 4-byte Folded Reload
	v_add_f64_e64 v[0:1], v[72:73], -v[112:113]
	v_add_f64_e64 v[2:3], v[74:75], -v[114:115]
	s_delay_alu instid0(VALU_DEP_2) | instskip(NEXT) | instid1(VALU_DEP_2)
	v_fma_f64 v[4:5], v[72:73], 2.0, -v[0:1]
	v_fma_f64 v[6:7], v[74:75], 2.0, -v[2:3]
	s_wait_loadcnt 0x0
	ds_store_b128 v8, v[4:7] offset:34560
	;; [unrolled: 9-line block ×3, first 2 shown]
	ds_store_b128 v8, v[0:3] offset:40320
	global_wb scope:SCOPE_SE
	s_wait_dscnt 0x0
	s_barrier_signal -1
	s_barrier_wait -1
	global_inv scope:SCOPE_SE
	s_clause 0x1
	scratch_load_b128 v[6:9], off, off offset:1620 th:TH_LOAD_LU
	scratch_load_b128 v[14:17], off, off offset:1636 th:TH_LOAD_LU
	ds_load_b128 v[0:3], v231 offset:23040
	ds_load_b128 v[56:59], v231 offset:10752
	;; [unrolled: 1-line block ×6, first 2 shown]
	s_wait_loadcnt_dscnt 0x105
	v_mul_f64_e32 v[4:5], v[8:9], v[2:3]
	s_delay_alu instid0(VALU_DEP_1) | instskip(SKIP_1) | instid1(VALU_DEP_1)
	v_fma_f64 v[4:5], v[6:7], v[0:1], v[4:5]
	v_mul_f64_e32 v[0:1], v[8:9], v[0:1]
	v_fma_f64 v[6:7], v[6:7], v[2:3], -v[0:1]
	ds_load_b128 v[0:3], v231 offset:24576
	s_wait_loadcnt_dscnt 0x0
	v_mul_f64_e32 v[8:9], v[16:17], v[2:3]
	s_delay_alu instid0(VALU_DEP_1)
	v_fma_f64 v[12:13], v[14:15], v[0:1], v[8:9]
	v_mul_f64_e32 v[0:1], v[16:17], v[0:1]
	scratch_load_b128 v[16:19], off, off offset:1652 th:TH_LOAD_LU ; 16-byte Folded Reload
	v_fma_f64 v[14:15], v[14:15], v[2:3], -v[0:1]
	ds_load_b128 v[0:3], v231 offset:26112
	s_wait_loadcnt_dscnt 0x0
	v_mul_f64_e32 v[8:9], v[18:19], v[2:3]
	s_delay_alu instid0(VALU_DEP_1) | instskip(SKIP_1) | instid1(VALU_DEP_1)
	v_fma_f64 v[20:21], v[16:17], v[0:1], v[8:9]
	v_mul_f64_e32 v[0:1], v[18:19], v[0:1]
	v_fma_f64 v[22:23], v[16:17], v[2:3], -v[0:1]
	scratch_load_b128 v[16:19], off, off offset:1668 th:TH_LOAD_LU ; 16-byte Folded Reload
	ds_load_b128 v[0:3], v231 offset:27648
	s_wait_loadcnt_dscnt 0x0
	v_mul_f64_e32 v[8:9], v[18:19], v[2:3]
	s_delay_alu instid0(VALU_DEP_1) | instskip(SKIP_1) | instid1(VALU_DEP_2)
	v_fma_f64 v[28:29], v[16:17], v[0:1], v[8:9]
	v_mul_f64_e32 v[0:1], v[18:19], v[0:1]
	v_add_f64_e64 v[28:29], v[24:25], -v[28:29]
	s_delay_alu instid0(VALU_DEP_2) | instskip(SKIP_4) | instid1(VALU_DEP_1)
	v_fma_f64 v[30:31], v[16:17], v[2:3], -v[0:1]
	scratch_load_b128 v[16:19], off, off offset:1684 th:TH_LOAD_LU ; 16-byte Folded Reload
	ds_load_b128 v[0:3], v231 offset:29184
	v_fma_f64 v[24:25], v[24:25], 2.0, -v[28:29]
	v_add_f64_e64 v[30:31], v[26:27], -v[30:31]
	v_fma_f64 v[26:27], v[26:27], 2.0, -v[30:31]
	s_wait_loadcnt_dscnt 0x0
	v_mul_f64_e32 v[8:9], v[18:19], v[2:3]
	s_delay_alu instid0(VALU_DEP_1) | instskip(SKIP_1) | instid1(VALU_DEP_2)
	v_fma_f64 v[36:37], v[16:17], v[0:1], v[8:9]
	v_mul_f64_e32 v[0:1], v[18:19], v[0:1]
	v_add_f64_e64 v[36:37], v[32:33], -v[36:37]
	s_delay_alu instid0(VALU_DEP_2)
	v_fma_f64 v[38:39], v[16:17], v[2:3], -v[0:1]
	ds_load_b128 v[0:3], v231 offset:30720
	ds_load_b128 v[16:19], v231 offset:3072
	s_wait_dscnt 0x1
	v_mul_f64_e32 v[8:9], v[242:243], v[2:3]
	s_wait_dscnt 0x0
	v_add_f64_e64 v[20:21], v[16:17], -v[20:21]
	v_add_f64_e64 v[22:23], v[18:19], -v[22:23]
	v_fma_f64 v[32:33], v[32:33], 2.0, -v[36:37]
	v_add_f64_e64 v[38:39], v[34:35], -v[38:39]
	v_fma_f64 v[44:45], v[240:241], v[0:1], v[8:9]
	v_mul_f64_e32 v[0:1], v[242:243], v[0:1]
	v_fma_f64 v[16:17], v[16:17], 2.0, -v[20:21]
	v_fma_f64 v[18:19], v[18:19], 2.0, -v[22:23]
	;; [unrolled: 1-line block ×3, first 2 shown]
	v_add_f64_e64 v[44:45], v[40:41], -v[44:45]
	v_fma_f64 v[46:47], v[240:241], v[2:3], -v[0:1]
	ds_load_b128 v[0:3], v231 offset:32256
	s_wait_dscnt 0x0
	v_mul_f64_e32 v[8:9], v[234:235], v[2:3]
	v_fma_f64 v[40:41], v[40:41], 2.0, -v[44:45]
	v_add_f64_e64 v[46:47], v[42:43], -v[46:47]
	s_delay_alu instid0(VALU_DEP_3) | instskip(SKIP_1) | instid1(VALU_DEP_3)
	v_fma_f64 v[52:53], v[232:233], v[0:1], v[8:9]
	v_mul_f64_e32 v[0:1], v[234:235], v[0:1]
	v_fma_f64 v[42:43], v[42:43], 2.0, -v[46:47]
	s_delay_alu instid0(VALU_DEP_3) | instskip(NEXT) | instid1(VALU_DEP_3)
	v_add_f64_e64 v[52:53], v[48:49], -v[52:53]
	v_fma_f64 v[54:55], v[232:233], v[2:3], -v[0:1]
	ds_load_b128 v[0:3], v231 offset:33792
	s_wait_dscnt 0x0
	v_mul_f64_e32 v[8:9], v[215:216], v[2:3]
	v_fma_f64 v[48:49], v[48:49], 2.0, -v[52:53]
	v_add_f64_e64 v[54:55], v[50:51], -v[54:55]
	s_delay_alu instid0(VALU_DEP_3) | instskip(SKIP_1) | instid1(VALU_DEP_3)
	v_fma_f64 v[60:61], v[213:214], v[0:1], v[8:9]
	v_mul_f64_e32 v[0:1], v[215:216], v[0:1]
	v_fma_f64 v[50:51], v[50:51], 2.0, -v[54:55]
	s_delay_alu instid0(VALU_DEP_3) | instskip(NEXT) | instid1(VALU_DEP_3)
	v_add_f64_e64 v[60:61], v[56:57], -v[60:61]
	v_fma_f64 v[62:63], v[213:214], v[2:3], -v[0:1]
	ds_load_b128 v[0:3], v231 offset:35328
	s_wait_dscnt 0x0
	v_mul_f64_e32 v[8:9], v[207:208], v[2:3]
	v_fma_f64 v[56:57], v[56:57], 2.0, -v[60:61]
	v_add_f64_e64 v[62:63], v[58:59], -v[62:63]
	s_delay_alu instid0(VALU_DEP_3) | instskip(SKIP_1) | instid1(VALU_DEP_3)
	v_fma_f64 v[92:93], v[205:206], v[0:1], v[8:9]
	v_mul_f64_e32 v[0:1], v[207:208], v[0:1]
	v_fma_f64 v[58:59], v[58:59], 2.0, -v[62:63]
	s_delay_alu instid0(VALU_DEP_2) | instskip(SKIP_3) | instid1(VALU_DEP_1)
	v_fma_f64 v[94:95], v[205:206], v[2:3], -v[0:1]
	ds_load_b128 v[0:3], v231 offset:36864
	s_wait_dscnt 0x0
	v_mul_f64_e32 v[8:9], v[211:212], v[2:3]
	v_fma_f64 v[96:97], v[209:210], v[0:1], v[8:9]
	v_mul_f64_e32 v[0:1], v[211:212], v[0:1]
	s_delay_alu instid0(VALU_DEP_1) | instskip(SKIP_3) | instid1(VALU_DEP_1)
	v_fma_f64 v[98:99], v[209:210], v[2:3], -v[0:1]
	ds_load_b128 v[0:3], v231 offset:38400
	s_wait_dscnt 0x0
	v_mul_f64_e32 v[8:9], v[195:196], v[2:3]
	v_fma_f64 v[100:101], v[193:194], v[0:1], v[8:9]
	v_mul_f64_e32 v[0:1], v[195:196], v[0:1]
	s_delay_alu instid0(VALU_DEP_1) | instskip(SKIP_3) | instid1(VALU_DEP_1)
	;; [unrolled: 7-line block ×5, first 2 shown]
	v_fma_f64 v[114:115], v[189:190], v[2:3], -v[0:1]
	ds_load_b128 v[0:3], v231 offset:44544
	s_wait_dscnt 0x0
	v_mul_f64_e32 v[8:9], v[180:181], v[2:3]
	v_fma_f64 v[116:117], v[178:179], v[0:1], v[8:9]
	v_mul_f64_e32 v[0:1], v[180:181], v[0:1]
	ds_load_b128 v[8:11], v231 offset:1536
	s_wait_dscnt 0x0
	v_add_f64_e64 v[12:13], v[8:9], -v[12:13]
	v_add_f64_e64 v[14:15], v[10:11], -v[14:15]
	v_fma_f64 v[118:119], v[178:179], v[2:3], -v[0:1]
	ds_load_b128 v[0:3], v231
	ds_load_b128 v[64:67], v231 offset:21504
	ds_load_b128 v[68:71], v231 offset:12288
	;; [unrolled: 1-line block ×7, first 2 shown]
	global_wb scope:SCOPE_SE
	s_wait_dscnt 0x0
	s_barrier_signal -1
	s_barrier_wait -1
	global_inv scope:SCOPE_SE
	v_add_f64_e64 v[4:5], v[0:1], -v[4:5]
	v_add_f64_e64 v[6:7], v[2:3], -v[6:7]
	v_fma_f64 v[8:9], v[8:9], 2.0, -v[12:13]
	v_fma_f64 v[10:11], v[10:11], 2.0, -v[14:15]
	s_delay_alu instid0(VALU_DEP_4) | instskip(NEXT) | instid1(VALU_DEP_4)
	v_fma_f64 v[0:1], v[0:1], 2.0, -v[4:5]
	v_fma_f64 v[2:3], v[2:3], 2.0, -v[6:7]
	ds_store_b128 v231, v[4:7] offset:11520
	ds_store_b128 v231, v[12:15] offset:13056
	ds_store_b128 v231, v[20:23] offset:14592
	ds_store_b128 v231, v[28:31] offset:16128
	ds_store_b128 v231, v[36:39] offset:17664
	ds_store_b128 v231, v[44:47] offset:19200
	ds_store_b128 v231, v[52:55] offset:20736
	ds_store_b128 v231, v[0:3]
	ds_store_b128 v231, v[8:11] offset:1536
	ds_store_b128 v231, v[16:19] offset:3072
	ds_store_b128 v231, v[24:27] offset:4608
	ds_store_b128 v231, v[32:35] offset:6144
	ds_store_b128 v231, v[40:43] offset:7680
	ds_store_b128 v231, v[48:51] offset:9216
	scratch_load_b32 v0, off, off offset:1700 th:TH_LOAD_LU ; 4-byte Folded Reload
	s_wait_loadcnt 0x0
	ds_store_b128 v0, v[56:59]
	ds_store_b128 v0, v[60:63] offset:11520
	v_add_f64_e64 v[0:1], v[68:69], -v[92:93]
	v_add_f64_e64 v[2:3], v[70:71], -v[94:95]
	;; [unrolled: 1-line block ×14, first 2 shown]
	v_fma_f64 v[4:5], v[68:69], 2.0, -v[0:1]
	v_fma_f64 v[6:7], v[70:71], 2.0, -v[2:3]
	;; [unrolled: 1-line block ×14, first 2 shown]
	ds_store_b128 v231, v[4:7] offset:23808
	ds_store_b128 v231, v[12:15] offset:25344
	;; [unrolled: 1-line block ×14, first 2 shown]
	global_wb scope:SCOPE_SE
	s_wait_dscnt 0x0
	s_barrier_signal -1
	s_barrier_wait -1
	global_inv scope:SCOPE_SE
	ds_load_b128 v[0:3], v231 offset:23040
	ds_load_b128 v[96:99], v231 offset:21504
	scratch_load_b128 v[40:43], off, off offset:1704 th:TH_LOAD_LU ; 16-byte Folded Reload
	s_wait_dscnt 0x1
	v_mul_f64_e32 v[4:5], v[238:239], v[2:3]
	s_delay_alu instid0(VALU_DEP_1) | instskip(SKIP_1) | instid1(VALU_DEP_1)
	v_fma_f64 v[4:5], v[236:237], v[0:1], v[4:5]
	v_mul_f64_e32 v[0:1], v[238:239], v[0:1]
	v_fma_f64 v[6:7], v[236:237], v[2:3], -v[0:1]
	ds_load_b128 v[0:3], v231 offset:24576
	s_wait_dscnt 0x0
	v_mul_f64_e32 v[8:9], v[227:228], v[2:3]
	s_delay_alu instid0(VALU_DEP_1) | instskip(SKIP_1) | instid1(VALU_DEP_1)
	v_fma_f64 v[8:9], v[225:226], v[0:1], v[8:9]
	v_mul_f64_e32 v[0:1], v[227:228], v[0:1]
	v_fma_f64 v[10:11], v[225:226], v[2:3], -v[0:1]
	ds_load_b128 v[0:3], v231 offset:26112
	;; [unrolled: 7-line block ×14, first 2 shown]
	s_wait_loadcnt_dscnt 0x0
	v_mul_f64_e32 v[32:33], v[42:43], v[2:3]
	s_delay_alu instid0(VALU_DEP_1) | instskip(SKIP_1) | instid1(VALU_DEP_1)
	v_fma_f64 v[120:121], v[40:41], v[0:1], v[32:33]
	v_mul_f64_e32 v[0:1], v[42:43], v[0:1]
	v_fma_f64 v[122:123], v[40:41], v[2:3], -v[0:1]
	ds_load_b128 v[0:3], v231
	s_wait_dscnt 0x0
	v_add_f64_e64 v[100:101], v[0:1], -v[4:5]
	v_add_f64_e64 v[102:103], v[2:3], -v[6:7]
	s_delay_alu instid0(VALU_DEP_2) | instskip(NEXT) | instid1(VALU_DEP_2)
	v_fma_f64 v[108:109], v[0:1], 2.0, -v[100:101]
	v_fma_f64 v[110:111], v[2:3], 2.0, -v[102:103]
	ds_load_b128 v[0:3], v231 offset:1536
	s_wait_dscnt 0x0
	v_add_f64_e64 v[112:113], v[0:1], -v[8:9]
	v_add_f64_e64 v[114:115], v[2:3], -v[10:11]
	s_delay_alu instid0(VALU_DEP_2) | instskip(NEXT) | instid1(VALU_DEP_2)
	v_fma_f64 v[4:5], v[0:1], 2.0, -v[112:113]
	v_fma_f64 v[6:7], v[2:3], 2.0, -v[114:115]
	ds_load_b128 v[0:3], v231 offset:3072
	;; [unrolled: 7-line block ×13, first 2 shown]
	s_wait_dscnt 0x0
	v_add_f64_e64 v[92:93], v[0:1], -v[88:89]
	v_add_f64_e64 v[94:95], v[2:3], -v[90:91]
	s_delay_alu instid0(VALU_DEP_2) | instskip(NEXT) | instid1(VALU_DEP_2)
	v_fma_f64 v[88:89], v[0:1], 2.0, -v[92:93]
	v_fma_f64 v[90:91], v[2:3], 2.0, -v[94:95]
	v_add_f64_e64 v[0:1], v[96:97], -v[120:121]
	v_add_f64_e64 v[2:3], v[98:99], -v[122:123]
	s_delay_alu instid0(VALU_DEP_2) | instskip(NEXT) | instid1(VALU_DEP_2)
	v_fma_f64 v[96:97], v[96:97], 2.0, -v[0:1]
	v_fma_f64 v[98:99], v[98:99], 2.0, -v[2:3]
	ds_store_b128 v231, v[100:103] offset:23040
	ds_store_b128 v231, v[112:115] offset:24576
	;; [unrolled: 1-line block ×15, first 2 shown]
	ds_store_b128 v231, v[108:111]
	ds_store_b128 v231, v[4:7] offset:1536
	ds_store_b128 v231, v[8:11] offset:3072
	;; [unrolled: 1-line block ×14, first 2 shown]
	global_wb scope:SCOPE_SE
	s_wait_dscnt 0x0
	s_barrier_signal -1
	s_barrier_wait -1
	global_inv scope:SCOPE_SE
	s_clause 0x3
	scratch_load_b128 v[6:9], off, off offset:448 th:TH_LOAD_LU
	scratch_load_b128 v[18:21], off, off offset:464 th:TH_LOAD_LU
	;; [unrolled: 1-line block ×4, first 2 shown]
	ds_load_b128 v[0:3], v231
	s_clause 0x19
	scratch_load_b128 v[22:25], off, off offset:432 th:TH_LOAD_LU
	scratch_load_b128 v[34:37], off, off offset:416 th:TH_LOAD_LU
	;; [unrolled: 1-line block ×26, first 2 shown]
	s_wait_loadcnt_dscnt 0x1d00
	v_mul_f64_e32 v[4:5], v[8:9], v[2:3]
	s_delay_alu instid0(VALU_DEP_1) | instskip(SKIP_1) | instid1(VALU_DEP_1)
	v_fma_f64 v[4:5], v[6:7], v[0:1], v[4:5]
	v_mul_f64_e32 v[0:1], v[8:9], v[0:1]
	v_fma_f64 v[6:7], v[6:7], v[2:3], -v[0:1]
	ds_load_b128 v[0:3], v231 offset:4608
	s_wait_loadcnt_dscnt 0x1b00
	v_mul_f64_e32 v[8:9], v[12:13], v[2:3]
	s_delay_alu instid0(VALU_DEP_1) | instskip(SKIP_1) | instid1(VALU_DEP_1)
	v_fma_f64 v[8:9], v[10:11], v[0:1], v[8:9]
	v_mul_f64_e32 v[0:1], v[12:13], v[0:1]
	v_fma_f64 v[10:11], v[10:11], v[2:3], -v[0:1]
	ds_load_b128 v[0:3], v231 offset:9216
	s_wait_loadcnt_dscnt 0x1a00
	v_mul_f64_e32 v[12:13], v[16:17], v[2:3]
	s_delay_alu instid0(VALU_DEP_1) | instskip(SKIP_1) | instid1(VALU_DEP_1)
	v_fma_f64 v[12:13], v[14:15], v[0:1], v[12:13]
	v_mul_f64_e32 v[0:1], v[16:17], v[0:1]
	v_fma_f64 v[14:15], v[14:15], v[2:3], -v[0:1]
	ds_load_b128 v[0:3], v231 offset:13824
	s_wait_dscnt 0x0
	v_mul_f64_e32 v[16:17], v[20:21], v[2:3]
	s_delay_alu instid0(VALU_DEP_1) | instskip(SKIP_1) | instid1(VALU_DEP_1)
	v_fma_f64 v[16:17], v[18:19], v[0:1], v[16:17]
	v_mul_f64_e32 v[0:1], v[20:21], v[0:1]
	v_fma_f64 v[18:19], v[18:19], v[2:3], -v[0:1]
	ds_load_b128 v[0:3], v231 offset:18432
	s_wait_loadcnt_dscnt 0x1900
	v_mul_f64_e32 v[20:21], v[24:25], v[2:3]
	s_delay_alu instid0(VALU_DEP_1) | instskip(SKIP_1) | instid1(VALU_DEP_1)
	v_fma_f64 v[20:21], v[22:23], v[0:1], v[20:21]
	v_mul_f64_e32 v[0:1], v[24:25], v[0:1]
	v_fma_f64 v[22:23], v[22:23], v[2:3], -v[0:1]
	ds_load_b128 v[0:3], v231 offset:23040
	s_wait_loadcnt_dscnt 0x1700
	v_mul_f64_e32 v[24:25], v[28:29], v[2:3]
	s_delay_alu instid0(VALU_DEP_1) | instskip(SKIP_1) | instid1(VALU_DEP_1)
	v_fma_f64 v[24:25], v[26:27], v[0:1], v[24:25]
	v_mul_f64_e32 v[0:1], v[28:29], v[0:1]
	v_fma_f64 v[26:27], v[26:27], v[2:3], -v[0:1]
	ds_load_b128 v[0:3], v231 offset:27648
	s_wait_loadcnt_dscnt 0x1600
	v_mul_f64_e32 v[28:29], v[32:33], v[2:3]
	s_delay_alu instid0(VALU_DEP_1) | instskip(SKIP_1) | instid1(VALU_DEP_1)
	v_fma_f64 v[28:29], v[30:31], v[0:1], v[28:29]
	v_mul_f64_e32 v[0:1], v[32:33], v[0:1]
	v_fma_f64 v[30:31], v[30:31], v[2:3], -v[0:1]
	ds_load_b128 v[0:3], v231 offset:32256
	s_wait_dscnt 0x0
	v_mul_f64_e32 v[32:33], v[36:37], v[2:3]
	s_delay_alu instid0(VALU_DEP_1) | instskip(SKIP_1) | instid1(VALU_DEP_1)
	v_fma_f64 v[32:33], v[34:35], v[0:1], v[32:33]
	v_mul_f64_e32 v[0:1], v[36:37], v[0:1]
	v_fma_f64 v[34:35], v[34:35], v[2:3], -v[0:1]
	ds_load_b128 v[0:3], v231 offset:36864
	;; [unrolled: 28-line block ×3, first 2 shown]
	s_wait_loadcnt_dscnt 0x1100
	v_mul_f64_e32 v[52:53], v[56:57], v[2:3]
	s_delay_alu instid0(VALU_DEP_1) | instskip(SKIP_1) | instid1(VALU_DEP_1)
	v_fma_f64 v[52:53], v[54:55], v[0:1], v[52:53]
	v_mul_f64_e32 v[0:1], v[56:57], v[0:1]
	v_fma_f64 v[54:55], v[54:55], v[2:3], -v[0:1]
	ds_load_b128 v[0:3], v231 offset:15360
	s_wait_loadcnt_dscnt 0xf00
	v_mul_f64_e32 v[56:57], v[60:61], v[2:3]
	s_delay_alu instid0(VALU_DEP_1) | instskip(SKIP_1) | instid1(VALU_DEP_1)
	v_fma_f64 v[56:57], v[58:59], v[0:1], v[56:57]
	v_mul_f64_e32 v[0:1], v[60:61], v[0:1]
	v_fma_f64 v[58:59], v[58:59], v[2:3], -v[0:1]
	ds_load_b128 v[0:3], v231 offset:19968
	;; [unrolled: 7-line block ×4, first 2 shown]
	s_wait_dscnt 0x0
	v_mul_f64_e32 v[68:69], v[72:73], v[2:3]
	s_delay_alu instid0(VALU_DEP_1) | instskip(SKIP_1) | instid1(VALU_DEP_1)
	v_fma_f64 v[68:69], v[70:71], v[0:1], v[68:69]
	v_mul_f64_e32 v[0:1], v[72:73], v[0:1]
	v_fma_f64 v[70:71], v[70:71], v[2:3], -v[0:1]
	ds_load_b128 v[0:3], v231 offset:33792
	s_wait_loadcnt_dscnt 0xb00
	v_mul_f64_e32 v[72:73], v[76:77], v[2:3]
	s_delay_alu instid0(VALU_DEP_1) | instskip(SKIP_1) | instid1(VALU_DEP_1)
	v_fma_f64 v[72:73], v[74:75], v[0:1], v[72:73]
	v_mul_f64_e32 v[0:1], v[76:77], v[0:1]
	v_fma_f64 v[74:75], v[74:75], v[2:3], -v[0:1]
	ds_load_b128 v[0:3], v231 offset:38400
	s_wait_loadcnt_dscnt 0xa00
	v_mul_f64_e32 v[76:77], v[80:81], v[2:3]
	s_delay_alu instid0(VALU_DEP_1) | instskip(SKIP_1) | instid1(VALU_DEP_1)
	v_fma_f64 v[76:77], v[78:79], v[0:1], v[76:77]
	v_mul_f64_e32 v[0:1], v[80:81], v[0:1]
	v_fma_f64 v[78:79], v[78:79], v[2:3], -v[0:1]
	ds_load_b128 v[0:3], v231 offset:43008
	s_wait_dscnt 0x0
	v_mul_f64_e32 v[80:81], v[84:85], v[2:3]
	s_delay_alu instid0(VALU_DEP_1) | instskip(SKIP_1) | instid1(VALU_DEP_1)
	v_fma_f64 v[80:81], v[82:83], v[0:1], v[80:81]
	v_mul_f64_e32 v[0:1], v[84:85], v[0:1]
	v_fma_f64 v[82:83], v[82:83], v[2:3], -v[0:1]
	ds_load_b128 v[0:3], v231 offset:3072
	s_wait_loadcnt_dscnt 0x900
	v_mul_f64_e32 v[84:85], v[88:89], v[2:3]
	s_delay_alu instid0(VALU_DEP_1) | instskip(SKIP_1) | instid1(VALU_DEP_1)
	v_fma_f64 v[84:85], v[86:87], v[0:1], v[84:85]
	v_mul_f64_e32 v[0:1], v[88:89], v[0:1]
	v_fma_f64 v[86:87], v[86:87], v[2:3], -v[0:1]
	ds_load_b128 v[0:3], v231 offset:7680
	s_wait_loadcnt_dscnt 0x700
	;; [unrolled: 7-line block ×6, first 2 shown]
	v_mul_f64_e32 v[104:105], v[108:109], v[2:3]
	s_delay_alu instid0(VALU_DEP_1) | instskip(SKIP_1) | instid1(VALU_DEP_1)
	v_fma_f64 v[104:105], v[106:107], v[0:1], v[104:105]
	v_mul_f64_e32 v[0:1], v[108:109], v[0:1]
	v_fma_f64 v[106:107], v[106:107], v[2:3], -v[0:1]
	ds_load_b128 v[0:3], v231 offset:30720
	s_wait_dscnt 0x0
	v_mul_f64_e32 v[108:109], v[112:113], v[2:3]
	s_delay_alu instid0(VALU_DEP_1) | instskip(SKIP_1) | instid1(VALU_DEP_1)
	v_fma_f64 v[108:109], v[110:111], v[0:1], v[108:109]
	v_mul_f64_e32 v[0:1], v[112:113], v[0:1]
	v_fma_f64 v[110:111], v[110:111], v[2:3], -v[0:1]
	ds_load_b128 v[0:3], v231 offset:35328
	s_wait_loadcnt_dscnt 0x0
	v_mul_f64_e32 v[112:113], v[116:117], v[2:3]
	s_delay_alu instid0(VALU_DEP_1) | instskip(SKIP_1) | instid1(VALU_DEP_1)
	v_fma_f64 v[112:113], v[114:115], v[0:1], v[112:113]
	v_mul_f64_e32 v[0:1], v[116:117], v[0:1]
	v_fma_f64 v[114:115], v[114:115], v[2:3], -v[0:1]
	ds_load_b128 v[0:3], v231 offset:39936
	s_wait_dscnt 0x0
	v_mul_f64_e32 v[116:117], v[120:121], v[2:3]
	s_delay_alu instid0(VALU_DEP_1) | instskip(SKIP_1) | instid1(VALU_DEP_1)
	v_fma_f64 v[116:117], v[118:119], v[0:1], v[116:117]
	v_mul_f64_e32 v[0:1], v[120:121], v[0:1]
	v_fma_f64 v[118:119], v[118:119], v[2:3], -v[0:1]
	ds_load_b128 v[0:3], v231 offset:44544
	s_wait_dscnt 0x0
	v_mul_f64_e32 v[120:121], v[124:125], v[2:3]
	s_delay_alu instid0(VALU_DEP_1) | instskip(SKIP_1) | instid1(VALU_DEP_1)
	v_fma_f64 v[120:121], v[122:123], v[0:1], v[120:121]
	v_mul_f64_e32 v[0:1], v[124:125], v[0:1]
	v_fma_f64 v[122:123], v[122:123], v[2:3], -v[0:1]
	scratch_load_b64 v[1:2], off, off offset:16 th:TH_LOAD_LU ; 8-byte Folded Reload
	s_wait_loadcnt 0x0
	v_mad_co_u64_u32 v[124:125], null, s6, v1, 0
	s_delay_alu instid0(VALU_DEP_1) | instskip(NEXT) | instid1(VALU_DEP_1)
	v_mov_b32_e32 v0, v125
	v_mad_co_u64_u32 v[0:1], null, s7, v1, v[0:1]
	s_mov_b32 s6, 0x16c16c17
	s_mov_b32 s7, 0x3f36c16c
	s_wait_alu 0xfffe
	v_mul_f64_e32 v[2:3], s[6:7], v[6:7]
	scratch_load_b32 v6, off, off offset:836 th:TH_LOAD_LU ; 4-byte Folded Reload
	v_mov_b32_e32 v125, v0
	v_mul_f64_e32 v[0:1], s[6:7], v[4:5]
	s_wait_loadcnt 0x0
	v_mad_co_u64_u32 v[4:5], null, s4, v6, 0
	s_delay_alu instid0(VALU_DEP_1) | instskip(SKIP_1) | instid1(VALU_DEP_2)
	v_mad_co_u64_u32 v[5:6], null, s5, v6, v[5:6]
	v_lshlrev_b64_e32 v[6:7], 4, v[124:125]
	v_lshlrev_b64_e32 v[4:5], 4, v[4:5]
	s_delay_alu instid0(VALU_DEP_2) | instskip(SKIP_1) | instid1(VALU_DEP_3)
	v_add_co_u32 v145, vcc_lo, s0, v6
	s_wait_alu 0xfffd
	v_add_co_ci_u32_e32 v152, vcc_lo, s1, v7, vcc_lo
	s_mul_i32 s0, s5, 0xffff6400
	s_delay_alu instid0(VALU_DEP_2) | instskip(SKIP_1) | instid1(VALU_DEP_2)
	v_add_co_u32 v4, vcc_lo, v145, v4
	s_wait_alu 0xfffd
	v_add_co_ci_u32_e32 v5, vcc_lo, v152, v5, vcc_lo
	s_wait_alu 0xfffe
	s_sub_co_i32 s0, s0, s4
	s_mul_i32 s1, s5, 0xffff7600
	global_store_b128 v[4:5], v[0:3], off
	v_mul_f64_e32 v[0:1], s[6:7], v[8:9]
	scratch_load_b32 v8, off, off offset:4 th:TH_LOAD_LU ; 4-byte Folded Reload
	v_mul_f64_e32 v[2:3], s[6:7], v[10:11]
	v_add_co_u32 v4, vcc_lo, v4, s8
	s_wait_alu 0xfffd
	v_add_co_ci_u32_e32 v5, vcc_lo, s9, v5, vcc_lo
	s_wait_alu 0xfffe
	s_sub_co_i32 s2, s1, s4
	global_store_b128 v[4:5], v[0:3], off
	v_mul_f64_e32 v[0:1], s[6:7], v[12:13]
	v_mul_f64_e32 v[2:3], s[6:7], v[14:15]
	v_add_co_u32 v4, vcc_lo, v4, s8
	s_wait_alu 0xfffd
	v_add_co_ci_u32_e32 v5, vcc_lo, s9, v5, vcc_lo
	global_store_b128 v[4:5], v[0:3], off
	v_mul_f64_e32 v[0:1], s[6:7], v[16:17]
	v_mul_f64_e32 v[2:3], s[6:7], v[18:19]
	s_clause 0x2
	scratch_load_b32 v16, off, off offset:8 th:TH_LOAD_LU
	scratch_load_b32 v17, off, off offset:12 th:TH_LOAD_LU
	;; [unrolled: 1-line block ×3, first 2 shown]
	v_add_co_u32 v4, vcc_lo, v4, s8
	s_wait_alu 0xfffd
	v_add_co_ci_u32_e32 v5, vcc_lo, s9, v5, vcc_lo
	global_store_b128 v[4:5], v[0:3], off
	v_mul_f64_e32 v[0:1], s[6:7], v[20:21]
	v_mul_f64_e32 v[2:3], s[6:7], v[22:23]
	s_wait_loadcnt 0x3
	v_mad_co_u64_u32 v[6:7], null, s4, v8, 0
	s_delay_alu instid0(VALU_DEP_1) | instskip(NEXT) | instid1(VALU_DEP_1)
	v_mad_co_u64_u32 v[7:8], null, s5, v8, v[7:8]
	v_lshlrev_b64_e32 v[6:7], 4, v[6:7]
	s_delay_alu instid0(VALU_DEP_1) | instskip(SKIP_1) | instid1(VALU_DEP_2)
	v_add_co_u32 v6, vcc_lo, v145, v6
	s_wait_alu 0xfffd
	v_add_co_ci_u32_e32 v7, vcc_lo, v152, v7, vcc_lo
	v_add_co_u32 v8, vcc_lo, v4, s10
	s_wait_alu 0xfffd
	v_add_co_ci_u32_e32 v9, vcc_lo, s11, v5, vcc_lo
	global_store_b128 v[6:7], v[0:3], off
	v_mul_f64_e32 v[0:1], s[6:7], v[24:25]
	v_mul_f64_e32 v[2:3], s[6:7], v[26:27]
	;; [unrolled: 1-line block ×6, first 2 shown]
	global_store_b128 v[8:9], v[0:3], off
	v_mul_f64_e32 v[0:1], s[6:7], v[28:29]
	v_mul_f64_e32 v[2:3], s[6:7], v[30:31]
	v_add_co_u32 v8, vcc_lo, v8, s8
	s_wait_alu 0xfffd
	v_add_co_ci_u32_e32 v9, vcc_lo, s9, v9, vcc_lo
	s_wait_loadcnt 0x2
	v_mad_co_u64_u32 v[10:11], null, s4, v16, 0
	s_wait_loadcnt 0x0
	v_mad_co_u64_u32 v[12:13], null, s4, v18, 0
	v_mad_co_u64_u32 v[14:15], null, s4, v17, 0
	global_store_b128 v[8:9], v[0:3], off
	v_dual_mov_b32 v0, v11 :: v_dual_mov_b32 v1, v13
	v_add_co_u32 v8, vcc_lo, v8, s8
	s_wait_alu 0xfffd
	v_add_co_ci_u32_e32 v9, vcc_lo, s9, v9, vcc_lo
	s_delay_alu instid0(VALU_DEP_3)
	v_mad_co_u64_u32 v[2:3], null, s5, v16, v[0:1]
	v_mov_b32_e32 v0, v15
	global_store_b128 v[8:9], v[4:7], off
	v_mad_co_u64_u32 v[3:4], null, s5, v18, v[1:2]
	scratch_load_b32 v4, off, off offset:24 th:TH_LOAD_LU ; 4-byte Folded Reload
	v_mov_b32_e32 v11, v2
	scratch_load_b32 v2, off, off th:TH_LOAD_LU ; 4-byte Folded Reload
	v_mad_co_u64_u32 v[0:1], null, s5, v17, v[0:1]
	v_lshlrev_b64_e32 v[24:25], 4, v[10:11]
	v_mov_b32_e32 v13, v3
	v_mul_f64_e32 v[10:11], s[6:7], v[46:47]
	v_mul_f64_e32 v[46:47], s[6:7], v[98:99]
	v_mov_b32_e32 v15, v0
	s_delay_alu instid0(VALU_DEP_4) | instskip(SKIP_2) | instid1(VALU_DEP_4)
	v_lshlrev_b64_e32 v[26:27], 4, v[12:13]
	v_mul_f64_e32 v[12:13], s[6:7], v[48:49]
	v_mul_f64_e32 v[48:49], s[6:7], v[100:101]
	v_lshlrev_b64_e32 v[30:31], 4, v[14:15]
	v_mul_f64_e32 v[14:15], s[6:7], v[50:51]
	v_mul_f64_e32 v[50:51], s[6:7], v[102:103]
	s_wait_loadcnt 0x1
	v_mad_co_u64_u32 v[16:17], null, s4, v4, 0
	s_wait_loadcnt 0x0
	v_mad_co_u64_u32 v[18:19], null, s4, v2, 0
	s_delay_alu instid0(VALU_DEP_2) | instskip(NEXT) | instid1(VALU_DEP_1)
	v_mov_b32_e32 v1, v17
	v_mad_co_u64_u32 v[4:5], null, s5, v4, v[1:2]
	s_delay_alu instid0(VALU_DEP_3) | instskip(NEXT) | instid1(VALU_DEP_1)
	v_mov_b32_e32 v1, v19
	v_mad_co_u64_u32 v[5:6], null, s5, v2, v[1:2]
	scratch_load_b32 v6, off, off offset:28 th:TH_LOAD_LU ; 4-byte Folded Reload
	v_mov_b32_e32 v17, v4
	v_mul_f64_e32 v[0:1], s[6:7], v[36:37]
	v_mul_f64_e32 v[2:3], s[6:7], v[38:39]
	;; [unrolled: 1-line block ×4, first 2 shown]
	v_mov_b32_e32 v19, v5
	v_lshlrev_b64_e32 v[128:129], 4, v[16:17]
	v_mul_f64_e32 v[16:17], s[6:7], v[68:69]
	v_mul_f64_e32 v[68:69], s[6:7], v[120:121]
	s_delay_alu instid0(VALU_DEP_4) | instskip(SKIP_2) | instid1(VALU_DEP_3)
	v_lshlrev_b64_e32 v[132:133], 4, v[18:19]
	v_mul_f64_e32 v[18:19], s[6:7], v[70:71]
	v_mul_f64_e32 v[70:71], s[6:7], v[122:123]
	v_add_co_u32 v132, s1, v145, v132
	s_wait_loadcnt 0x0
	v_mad_co_u64_u32 v[20:21], null, s4, v6, 0
	s_delay_alu instid0(VALU_DEP_1) | instskip(NEXT) | instid1(VALU_DEP_1)
	v_mov_b32_e32 v4, v21
	v_mad_co_u64_u32 v[21:22], null, s5, v6, v[4:5]
	v_add_co_u32 v22, vcc_lo, v8, s10
	s_wait_alu 0xfffd
	v_add_co_ci_u32_e32 v23, vcc_lo, s11, v9, vcc_lo
	v_add_co_u32 v24, vcc_lo, v145, v24
	s_wait_alu 0xfffd
	v_add_co_ci_u32_e32 v25, vcc_lo, v152, v25, vcc_lo
	s_delay_alu instid0(VALU_DEP_3)
	v_mad_co_u64_u32 v[28:29], null, 0xffff6400, s4, v[22:23]
	v_mul_f64_e32 v[4:5], s[6:7], v[40:41]
	v_mul_f64_e32 v[6:7], s[6:7], v[42:43]
	;; [unrolled: 1-line block ×3, first 2 shown]
	global_store_b128 v[24:25], v[0:3], off
	v_mul_f64_e32 v[2:3], s[6:7], v[54:55]
	v_lshlrev_b64_e32 v[138:139], 4, v[20:21]
	v_add_nc_u32_e32 v29, s0, v29
	v_add_co_u32 v124, vcc_lo, v28, s10
	v_add_co_u32 v144, s0, v145, v30
	s_wait_alu 0xfffd
	s_delay_alu instid0(VALU_DEP_3) | instskip(NEXT) | instid1(VALU_DEP_3)
	v_add_co_ci_u32_e32 v125, vcc_lo, s11, v29, vcc_lo
	v_add_co_u32 v126, vcc_lo, v124, s8
	v_mul_f64_e32 v[20:21], s[6:7], v[72:73]
	s_wait_alu 0xfffd
	s_delay_alu instid0(VALU_DEP_3) | instskip(NEXT) | instid1(VALU_DEP_3)
	v_add_co_ci_u32_e32 v127, vcc_lo, s9, v125, vcc_lo
	v_add_co_u32 v130, vcc_lo, v126, s8
	v_mul_f64_e32 v[24:25], s[6:7], v[76:77]
	;; [unrolled: 5-line block ×5, first 2 shown]
	s_wait_alu 0xfffd
	s_delay_alu instid0(VALU_DEP_3) | instskip(SKIP_3) | instid1(VALU_DEP_3)
	v_add_co_ci_u32_e32 v141, vcc_lo, s9, v137, vcc_lo
	v_add_co_u32 v0, vcc_lo, v145, v26
	s_wait_alu 0xfffd
	v_add_co_ci_u32_e32 v1, vcc_lo, v152, v27, vcc_lo
	v_mad_co_u64_u32 v[142:143], null, 0xffff7600, s4, v[140:141]
	global_store_b128 v[22:23], v[4:7], off
	global_store_b128 v[28:29], v[8:11], off
	;; [unrolled: 1-line block ×3, first 2 shown]
	v_mul_f64_e32 v[0:1], s[6:7], v[52:53]
	v_mul_f64_e32 v[4:5], s[6:7], v[56:57]
	;; [unrolled: 1-line block ×3, first 2 shown]
	s_wait_alu 0xfffe
	v_add_nc_u32_e32 v143, s2, v143
	v_mul_f64_e32 v[8:9], s[6:7], v[60:61]
	v_mul_f64_e32 v[10:11], s[6:7], v[62:63]
	;; [unrolled: 1-line block ×4, first 2 shown]
	v_add_co_u32 v146, s2, v142, s8
	v_mul_f64_e32 v[22:23], s[6:7], v[74:75]
	s_wait_alu 0xf1ff
	v_add_co_ci_u32_e64 v147, s2, s9, v143, s2
	v_mul_f64_e32 v[26:27], s[6:7], v[78:79]
	v_add_co_u32 v128, vcc_lo, v145, v128
	v_add_co_u32 v138, s2, v145, v138
	v_add_co_ci_u32_e64 v145, s0, v152, v31, s0
	v_mul_f64_e32 v[28:29], s[6:7], v[80:81]
	v_mul_f64_e32 v[30:31], s[6:7], v[82:83]
	v_add_co_u32 v148, s3, v146, s10
	s_wait_alu 0xf1ff
	v_add_co_ci_u32_e64 v149, s3, s11, v147, s3
	v_mul_f64_e32 v[52:53], s[6:7], v[104:105]
	v_mul_f64_e32 v[54:55], s[6:7], v[106:107]
	;; [unrolled: 1-line block ×6, first 2 shown]
	v_add_co_u32 v150, s0, v148, s8
	v_mul_f64_e32 v[64:65], s[6:7], v[116:117]
	v_mul_f64_e32 v[66:67], s[6:7], v[118:119]
	s_wait_alu 0xf1ff
	v_add_co_ci_u32_e64 v151, s0, s9, v149, s0
	v_add_co_u32 v72, s0, v150, s8
	s_wait_alu 0xfffd
	v_add_co_ci_u32_e32 v129, vcc_lo, v152, v129, vcc_lo
	s_wait_alu 0xf1ff
	v_add_co_ci_u32_e64 v73, s0, s9, v151, s0
	v_add_co_u32 v74, vcc_lo, v72, s10
	s_wait_alu 0xfffd
	s_delay_alu instid0(VALU_DEP_2) | instskip(SKIP_1) | instid1(VALU_DEP_3)
	v_add_co_ci_u32_e32 v75, vcc_lo, s11, v73, vcc_lo
	v_add_co_ci_u32_e64 v133, vcc_lo, v152, v133, s1
	v_add_co_u32 v76, vcc_lo, v74, s8
	s_wait_alu 0xfffd
	s_delay_alu instid0(VALU_DEP_3) | instskip(SKIP_1) | instid1(VALU_DEP_3)
	v_add_co_ci_u32_e32 v77, vcc_lo, s9, v75, vcc_lo
	v_add_co_ci_u32_e64 v139, vcc_lo, v152, v139, s2
	v_add_co_u32 v78, vcc_lo, v76, s8
	s_wait_alu 0xfffd
	s_delay_alu instid0(VALU_DEP_3)
	v_add_co_ci_u32_e32 v79, vcc_lo, s9, v77, vcc_lo
	global_store_b128 v[124:125], v[0:3], off
	global_store_b128 v[126:127], v[4:7], off
	;; [unrolled: 1-line block ×18, first 2 shown]
.LBB0_2:
	s_nop 0
	s_sendmsg sendmsg(MSG_DEALLOC_VGPRS)
	s_endpgm
	.section	.rodata,"a",@progbits
	.p2align	6, 0x0
	.amdhsa_kernel bluestein_single_fwd_len2880_dim1_dp_op_CI_CI
		.amdhsa_group_segment_fixed_size 46080
		.amdhsa_private_segment_fixed_size 1724
		.amdhsa_kernarg_size 104
		.amdhsa_user_sgpr_count 2
		.amdhsa_user_sgpr_dispatch_ptr 0
		.amdhsa_user_sgpr_queue_ptr 0
		.amdhsa_user_sgpr_kernarg_segment_ptr 1
		.amdhsa_user_sgpr_dispatch_id 0
		.amdhsa_user_sgpr_private_segment_size 0
		.amdhsa_wavefront_size32 1
		.amdhsa_uses_dynamic_stack 0
		.amdhsa_enable_private_segment 1
		.amdhsa_system_sgpr_workgroup_id_x 1
		.amdhsa_system_sgpr_workgroup_id_y 0
		.amdhsa_system_sgpr_workgroup_id_z 0
		.amdhsa_system_sgpr_workgroup_info 0
		.amdhsa_system_vgpr_workitem_id 0
		.amdhsa_next_free_vgpr 256
		.amdhsa_next_free_sgpr 32
		.amdhsa_reserve_vcc 1
		.amdhsa_float_round_mode_32 0
		.amdhsa_float_round_mode_16_64 0
		.amdhsa_float_denorm_mode_32 3
		.amdhsa_float_denorm_mode_16_64 3
		.amdhsa_fp16_overflow 0
		.amdhsa_workgroup_processor_mode 1
		.amdhsa_memory_ordered 1
		.amdhsa_forward_progress 0
		.amdhsa_round_robin_scheduling 0
		.amdhsa_exception_fp_ieee_invalid_op 0
		.amdhsa_exception_fp_denorm_src 0
		.amdhsa_exception_fp_ieee_div_zero 0
		.amdhsa_exception_fp_ieee_overflow 0
		.amdhsa_exception_fp_ieee_underflow 0
		.amdhsa_exception_fp_ieee_inexact 0
		.amdhsa_exception_int_div_zero 0
	.end_amdhsa_kernel
	.text
.Lfunc_end0:
	.size	bluestein_single_fwd_len2880_dim1_dp_op_CI_CI, .Lfunc_end0-bluestein_single_fwd_len2880_dim1_dp_op_CI_CI
                                        ; -- End function
	.section	.AMDGPU.csdata,"",@progbits
; Kernel info:
; codeLenInByte = 43148
; NumSgprs: 34
; NumVgprs: 256
; ScratchSize: 1724
; MemoryBound: 0
; FloatMode: 240
; IeeeMode: 1
; LDSByteSize: 46080 bytes/workgroup (compile time only)
; SGPRBlocks: 4
; VGPRBlocks: 31
; NumSGPRsForWavesPerEU: 34
; NumVGPRsForWavesPerEU: 256
; Occupancy: 2
; WaveLimiterHint : 1
; COMPUTE_PGM_RSRC2:SCRATCH_EN: 1
; COMPUTE_PGM_RSRC2:USER_SGPR: 2
; COMPUTE_PGM_RSRC2:TRAP_HANDLER: 0
; COMPUTE_PGM_RSRC2:TGID_X_EN: 1
; COMPUTE_PGM_RSRC2:TGID_Y_EN: 0
; COMPUTE_PGM_RSRC2:TGID_Z_EN: 0
; COMPUTE_PGM_RSRC2:TIDIG_COMP_CNT: 0
	.text
	.p2alignl 7, 3214868480
	.fill 96, 4, 3214868480
	.type	__hip_cuid_30f5f8a14d978bfa,@object ; @__hip_cuid_30f5f8a14d978bfa
	.section	.bss,"aw",@nobits
	.globl	__hip_cuid_30f5f8a14d978bfa
__hip_cuid_30f5f8a14d978bfa:
	.byte	0                               ; 0x0
	.size	__hip_cuid_30f5f8a14d978bfa, 1

	.ident	"AMD clang version 19.0.0git (https://github.com/RadeonOpenCompute/llvm-project roc-6.4.0 25133 c7fe45cf4b819c5991fe208aaa96edf142730f1d)"
	.section	".note.GNU-stack","",@progbits
	.addrsig
	.addrsig_sym __hip_cuid_30f5f8a14d978bfa
	.amdgpu_metadata
---
amdhsa.kernels:
  - .args:
      - .actual_access:  read_only
        .address_space:  global
        .offset:         0
        .size:           8
        .value_kind:     global_buffer
      - .actual_access:  read_only
        .address_space:  global
        .offset:         8
        .size:           8
        .value_kind:     global_buffer
      - .actual_access:  read_only
        .address_space:  global
        .offset:         16
        .size:           8
        .value_kind:     global_buffer
      - .actual_access:  read_only
        .address_space:  global
        .offset:         24
        .size:           8
        .value_kind:     global_buffer
      - .actual_access:  read_only
        .address_space:  global
        .offset:         32
        .size:           8
        .value_kind:     global_buffer
      - .offset:         40
        .size:           8
        .value_kind:     by_value
      - .address_space:  global
        .offset:         48
        .size:           8
        .value_kind:     global_buffer
      - .address_space:  global
        .offset:         56
        .size:           8
        .value_kind:     global_buffer
      - .address_space:  global
        .offset:         64
        .size:           8
        .value_kind:     global_buffer
      - .address_space:  global
        .offset:         72
        .size:           8
        .value_kind:     global_buffer
      - .offset:         80
        .size:           4
        .value_kind:     by_value
      - .address_space:  global
        .offset:         88
        .size:           8
        .value_kind:     global_buffer
      - .address_space:  global
        .offset:         96
        .size:           8
        .value_kind:     global_buffer
    .group_segment_fixed_size: 46080
    .kernarg_segment_align: 8
    .kernarg_segment_size: 104
    .language:       OpenCL C
    .language_version:
      - 2
      - 0
    .max_flat_workgroup_size: 96
    .name:           bluestein_single_fwd_len2880_dim1_dp_op_CI_CI
    .private_segment_fixed_size: 1724
    .sgpr_count:     34
    .sgpr_spill_count: 0
    .symbol:         bluestein_single_fwd_len2880_dim1_dp_op_CI_CI.kd
    .uniform_work_group_size: 1
    .uses_dynamic_stack: false
    .vgpr_count:     256
    .vgpr_spill_count: 434
    .wavefront_size: 32
    .workgroup_processor_mode: 1
amdhsa.target:   amdgcn-amd-amdhsa--gfx1201
amdhsa.version:
  - 1
  - 2
...

	.end_amdgpu_metadata
